;; amdgpu-corpus repo=ROCm/rocFFT kind=compiled arch=gfx1100 opt=O3
	.text
	.amdgcn_target "amdgcn-amd-amdhsa--gfx1100"
	.amdhsa_code_object_version 6
	.protected	bluestein_single_back_len119_dim1_dp_op_CI_CI ; -- Begin function bluestein_single_back_len119_dim1_dp_op_CI_CI
	.globl	bluestein_single_back_len119_dim1_dp_op_CI_CI
	.p2align	8
	.type	bluestein_single_back_len119_dim1_dp_op_CI_CI,@function
bluestein_single_back_len119_dim1_dp_op_CI_CI: ; @bluestein_single_back_len119_dim1_dp_op_CI_CI
; %bb.0:
	s_load_b128 s[8:11], s[0:1], 0x28
	v_mul_u32_u24_e32 v1, 0xf10, v0
	s_mov_b32 s2, exec_lo
	s_delay_alu instid0(VALU_DEP_1) | instskip(NEXT) | instid1(VALU_DEP_1)
	v_lshrrev_b32_e32 v1, 16, v1
	v_mad_u64_u32 v[254:255], null, s15, 15, v[1:2]
	v_mov_b32_e32 v255, 0
	s_waitcnt lgkmcnt(0)
	s_delay_alu instid0(VALU_DEP_1)
	v_cmpx_gt_u64_e64 s[8:9], v[254:255]
	s_cbranch_execz .LBB0_15
; %bb.1:
	v_mul_hi_u32 v2, 0x88888889, v254
	v_mul_lo_u16 v1, v1, 17
	s_clause 0x1
	s_load_b64 s[8:9], s[0:1], 0x0
	s_load_b64 s[12:13], s[0:1], 0x38
	s_delay_alu instid0(VALU_DEP_1) | instskip(NEXT) | instid1(VALU_DEP_3)
	v_sub_nc_u16 v0, v0, v1
	v_lshrrev_b32_e32 v2, 3, v2
	s_delay_alu instid0(VALU_DEP_2) | instskip(SKIP_1) | instid1(VALU_DEP_3)
	v_and_b32_e32 v255, 0xffff, v0
	v_cmp_gt_u16_e32 vcc_lo, 7, v0
	v_mul_lo_u32 v2, v2, 15
	s_delay_alu instid0(VALU_DEP_3) | instskip(SKIP_2) | instid1(VALU_DEP_4)
	v_lshlrev_b32_e32 v220, 4, v255
	v_or_b32_e32 v253, 56, v255
	v_or_b32_e32 v108, 0x70, v255
	v_sub_nc_u32_e32 v1, v254, v2
	s_delay_alu instid0(VALU_DEP_1) | instskip(NEXT) | instid1(VALU_DEP_1)
	v_mul_u32_u24_e32 v211, 0x77, v1
	v_lshlrev_b32_e32 v0, 4, v211
	scratch_store_b32 off, v0, off          ; 4-byte Folded Spill
	s_and_saveexec_b32 s3, vcc_lo
	s_cbranch_execz .LBB0_3
; %bb.2:
	s_load_b64 s[4:5], s[0:1], 0x18
	s_waitcnt lgkmcnt(0)
	s_load_b128 s[4:7], s[4:5], 0x0
	s_waitcnt lgkmcnt(0)
	v_mad_u64_u32 v[24:25], null, s6, v254, 0
	v_mad_u64_u32 v[26:27], null, s4, v255, 0
	s_mul_i32 s6, s5, 0x70
	s_mul_i32 s14, s4, 0x70
	v_mad_u64_u32 v[48:49], null, s4, v253, 0
	s_delay_alu instid0(VALU_DEP_3) | instskip(SKIP_1) | instid1(VALU_DEP_4)
	v_mov_b32_e32 v0, v25
	v_mad_u64_u32 v[56:57], null, s4, v108, 0
	v_mov_b32_e32 v16, v27
	s_delay_alu instid0(VALU_DEP_3) | instskip(SKIP_1) | instid1(VALU_DEP_2)
	v_mad_u64_u32 v[27:28], null, s7, v254, v[0:1]
	s_mul_hi_u32 s7, s4, 0x70
	v_mad_u64_u32 v[44:45], null, s5, v255, v[16:17]
	s_add_i32 s7, s7, s6
	s_clause 0x5
	global_load_b128 v[4:7], v220, s[8:9]
	global_load_b128 v[0:3], v220, s[8:9] offset:112
	global_load_b128 v[8:11], v220, s[8:9] offset:224
	global_load_b128 v[12:15], v220, s[8:9] offset:336
	global_load_b128 v[16:19], v220, s[8:9] offset:448
	global_load_b128 v[20:23], v220, s[8:9] offset:560
	v_mov_b32_e32 v25, v27
	s_clause 0x3
	global_load_b128 v[28:31], v220, s[8:9] offset:672
	global_load_b128 v[32:35], v220, s[8:9] offset:784
	;; [unrolled: 1-line block ×4, first 2 shown]
	v_mov_b32_e32 v27, v44
	v_lshlrev_b64 v[24:25], 4, v[24:25]
	s_delay_alu instid0(VALU_DEP_2) | instskip(NEXT) | instid1(VALU_DEP_2)
	v_lshlrev_b64 v[26:27], 4, v[26:27]
	v_add_co_u32 v62, s2, s10, v24
	s_delay_alu instid0(VALU_DEP_1) | instskip(SKIP_1) | instid1(VALU_DEP_3)
	v_add_co_ci_u32_e64 v63, s2, s11, v25, s2
	v_mov_b32_e32 v24, v49
	v_add_co_u32 v68, s2, v62, v26
	s_delay_alu instid0(VALU_DEP_1) | instskip(SKIP_1) | instid1(VALU_DEP_3)
	v_add_co_ci_u32_e64 v69, s2, v63, v27, s2
	v_mov_b32_e32 v25, v57
	v_add_co_u32 v72, s2, v68, s14
	s_delay_alu instid0(VALU_DEP_1) | instskip(NEXT) | instid1(VALU_DEP_3)
	v_add_co_ci_u32_e64 v73, s2, s7, v69, s2
	v_mad_u64_u32 v[26:27], null, s5, v253, v[24:25]
	s_delay_alu instid0(VALU_DEP_3) | instskip(NEXT) | instid1(VALU_DEP_1)
	v_add_co_u32 v76, s2, v72, s14
	v_add_co_ci_u32_e64 v77, s2, s7, v73, s2
	s_delay_alu instid0(VALU_DEP_2) | instskip(NEXT) | instid1(VALU_DEP_4)
	v_add_co_u32 v80, s2, v76, s14
	v_mov_b32_e32 v49, v26
	s_delay_alu instid0(VALU_DEP_3) | instskip(NEXT) | instid1(VALU_DEP_3)
	v_add_co_ci_u32_e64 v81, s2, s7, v77, s2
	v_add_co_u32 v84, s2, v80, s14
	v_mad_u64_u32 v[50:51], null, s5, v108, v[25:26]
	s_delay_alu instid0(VALU_DEP_3) | instskip(NEXT) | instid1(VALU_DEP_3)
	v_add_co_ci_u32_e64 v85, s2, s7, v81, s2
	v_add_co_u32 v88, s2, v84, s14
	v_lshlrev_b64 v[58:59], 4, v[48:49]
	s_delay_alu instid0(VALU_DEP_3) | instskip(NEXT) | instid1(VALU_DEP_3)
	v_add_co_ci_u32_e64 v89, s2, s7, v85, s2
	v_add_co_u32 v92, s2, v88, s14
	s_clause 0x1
	global_load_b128 v[24:27], v220, s[8:9] offset:1120
	global_load_b128 v[44:47], v220, s[8:9] offset:1232
	v_add_co_ci_u32_e64 v93, s2, s7, v89, s2
	v_add_co_u32 v96, s2, v92, s14
	s_delay_alu instid0(VALU_DEP_1) | instskip(SKIP_1) | instid1(VALU_DEP_1)
	v_add_co_ci_u32_e64 v97, s2, s7, v93, s2
	v_add_co_u32 v60, s2, v62, v58
	v_add_co_ci_u32_e64 v61, s2, v63, v59, s2
	s_delay_alu instid0(VALU_DEP_3)
	v_mad_u64_u32 v[100:101], null, 0xe0, s4, v[96:97]
	v_mov_b32_e32 v57, v50
	s_clause 0x1
	global_load_b128 v[48:51], v220, s[8:9] offset:1344
	global_load_b128 v[52:55], v220, s[8:9] offset:1456
	v_mov_b32_e32 v64, v101
	v_lshlrev_b64 v[56:57], 4, v[56:57]
	s_delay_alu instid0(VALU_DEP_1) | instskip(NEXT) | instid1(VALU_DEP_1)
	v_add_co_u32 v65, s2, v62, v56
	v_add_co_ci_u32_e64 v66, s2, v63, v57, s2
	v_add_co_u32 v104, s2, v100, s14
	s_delay_alu instid0(VALU_DEP_3)
	v_mad_u64_u32 v[94:95], null, 0xe0, s5, v[64:65]
	global_load_b128 v[56:59], v220, s[8:9] offset:1792
	s_clause 0x6
	global_load_b128 v[60:63], v[60:61], off
	global_load_b128 v[64:67], v[65:66], off
	;; [unrolled: 1-line block ×9, first 2 shown]
	v_mov_b32_e32 v101, v94
	global_load_b128 v[92:95], v[92:93], off
	v_add_co_ci_u32_e64 v105, s2, s7, v101, s2
	v_add_co_u32 v109, s2, v104, s14
	global_load_b128 v[100:103], v[100:101], off
	v_add_co_ci_u32_e64 v110, s2, s7, v105, s2
	v_add_co_u32 v113, s2, v109, s14
	;; [unrolled: 3-line block ×5, first 2 shown]
	s_delay_alu instid0(VALU_DEP_1)
	v_add_co_ci_u32_e64 v134, s2, s7, v122, s2
	global_load_b128 v[117:120], v[117:118], off
	global_load_b128 v[121:124], v[121:122], off
	s_clause 0x1
	global_load_b128 v[125:128], v220, s[8:9] offset:1568
	global_load_b128 v[129:132], v220, s[8:9] offset:1680
	global_load_b128 v[133:136], v[133:134], off
	s_waitcnt vmcnt(16)
	v_mul_f64 v[137:138], v[70:71], v[6:7]
	v_mul_f64 v[6:7], v[68:69], v[6:7]
	s_waitcnt vmcnt(15)
	v_mul_f64 v[143:144], v[74:75], v[2:3]
	v_mul_f64 v[145:146], v[72:73], v[2:3]
	;; [unrolled: 1-line block ×5, first 2 shown]
	s_waitcnt vmcnt(14)
	v_mul_f64 v[147:148], v[78:79], v[10:11]
	v_mul_f64 v[10:11], v[76:77], v[10:11]
	s_waitcnt vmcnt(13)
	v_mul_f64 v[149:150], v[82:83], v[14:15]
	v_mul_f64 v[14:15], v[80:81], v[14:15]
	;; [unrolled: 3-line block ×5, first 2 shown]
	v_mul_f64 v[157:158], v[98:99], v[34:35]
	v_mul_f64 v[159:160], v[96:97], v[34:35]
	s_waitcnt vmcnt(8)
	v_mul_f64 v[161:162], v[102:103], v[42:43]
	v_mul_f64 v[42:43], v[100:101], v[42:43]
	;; [unrolled: 1-line block ×3, first 2 shown]
	s_waitcnt vmcnt(7)
	v_mul_f64 v[163:164], v[106:107], v[26:27]
	v_mul_f64 v[165:166], v[104:105], v[26:27]
	s_waitcnt vmcnt(6)
	v_mul_f64 v[167:168], v[111:112], v[46:47]
	v_mul_f64 v[46:47], v[109:110], v[46:47]
	;; [unrolled: 3-line block ×6, first 2 shown]
	v_fma_f64 v[2:3], v[68:69], v[4:5], v[137:138]
	v_fma_f64 v[4:5], v[70:71], v[4:5], -v[6:7]
	v_fma_f64 v[34:35], v[60:61], v[36:37], v[139:140]
	v_fma_f64 v[58:59], v[72:73], v[0:1], v[143:144]
	v_fma_f64 v[60:61], v[74:75], v[0:1], -v[145:146]
	v_fma_f64 v[36:37], v[62:63], v[36:37], -v[38:39]
	v_fma_f64 v[6:7], v[64:65], v[56:57], v[141:142]
	v_fma_f64 v[62:63], v[76:77], v[8:9], v[147:148]
	v_fma_f64 v[64:65], v[78:79], v[8:9], -v[10:11]
	v_fma_f64 v[10:11], v[80:81], v[12:13], v[149:150]
	v_fma_f64 v[12:13], v[82:83], v[12:13], -v[14:15]
	v_fma_f64 v[14:15], v[84:85], v[16:17], v[151:152]
	v_fma_f64 v[16:17], v[86:87], v[16:17], -v[18:19]
	v_fma_f64 v[18:19], v[88:89], v[20:21], v[153:154]
	v_fma_f64 v[20:21], v[90:91], v[20:21], -v[22:23]
	v_fma_f64 v[26:27], v[92:93], v[28:29], v[155:156]
	v_fma_f64 v[28:29], v[94:95], v[28:29], -v[30:31]
	v_fma_f64 v[30:31], v[96:97], v[32:33], v[157:158]
	v_fma_f64 v[32:33], v[98:99], v[32:33], -v[159:160]
	v_fma_f64 v[38:39], v[100:101], v[40:41], v[161:162]
	v_fma_f64 v[40:41], v[102:103], v[40:41], -v[42:43]
	v_fma_f64 v[22:23], v[104:105], v[24:25], v[163:164]
	v_fma_f64 v[24:25], v[106:107], v[24:25], -v[165:166]
	v_fma_f64 v[42:43], v[109:110], v[44:45], v[167:168]
	v_fma_f64 v[44:45], v[111:112], v[44:45], -v[46:47]
	v_fma_f64 v[8:9], v[66:67], v[56:57], -v[177:178]
	v_lshlrev_b32_e32 v1, 4, v211
	v_fma_f64 v[46:47], v[113:114], v[48:49], v[169:170]
	v_fma_f64 v[48:49], v[115:116], v[48:49], -v[50:51]
	s_delay_alu instid0(VALU_DEP_3)
	v_lshl_add_u32 v0, v255, 4, v1
	v_fma_f64 v[50:51], v[117:118], v[52:53], v[171:172]
	v_fma_f64 v[52:53], v[119:120], v[52:53], -v[54:55]
	v_fma_f64 v[68:69], v[121:122], v[125:126], v[173:174]
	v_fma_f64 v[70:71], v[123:124], v[125:126], -v[127:128]
	;; [unrolled: 2-line block ×3, first 2 shown]
	v_add_nc_u32_e32 v1, v1, v220
	ds_store_b128 v0, v[2:5]
	ds_store_b128 v1, v[58:61] offset:112
	ds_store_b128 v1, v[62:65] offset:224
	;; [unrolled: 1-line block ×16, first 2 shown]
.LBB0_3:
	s_or_b32 exec_lo, exec_lo, s3
	s_clause 0x1
	s_load_b64 s[2:3], s[0:1], 0x20
	s_load_b64 s[4:5], s[0:1], 0x8
	s_waitcnt lgkmcnt(0)
	s_waitcnt_vscnt null, 0x0
	s_barrier
	buffer_gl0_inv
                                        ; implicit-def: $vgpr78_vgpr79
                                        ; implicit-def: $vgpr74_vgpr75
                                        ; implicit-def: $vgpr70_vgpr71
                                        ; implicit-def: $vgpr66_vgpr67
                                        ; implicit-def: $vgpr26_vgpr27
                                        ; implicit-def: $vgpr84_vgpr85
                                        ; implicit-def: $vgpr88_vgpr89
                                        ; implicit-def: $vgpr96_vgpr97
                                        ; implicit-def: $vgpr100_vgpr101
                                        ; implicit-def: $vgpr104_vgpr105
                                        ; implicit-def: $vgpr92_vgpr93
                                        ; implicit-def: $vgpr60_vgpr61
                                        ; implicit-def: $vgpr52_vgpr53
                                        ; implicit-def: $vgpr48_vgpr49
                                        ; implicit-def: $vgpr44_vgpr45
                                        ; implicit-def: $vgpr40_vgpr41
                                        ; implicit-def: $vgpr36_vgpr37
	s_and_saveexec_b32 s0, vcc_lo
	s_cbranch_execz .LBB0_5
; %bb.4:
	v_lshl_add_u32 v0, v211, 4, v220
	ds_load_b128 v[24:27], v0
	ds_load_b128 v[64:67], v0 offset:112
	ds_load_b128 v[68:71], v0 offset:224
	;; [unrolled: 1-line block ×16, first 2 shown]
.LBB0_5:
	s_or_b32 exec_lo, exec_lo, s0
	s_waitcnt lgkmcnt(0)
	v_add_f64 v[2:3], v[66:67], -v[38:39]
	s_mov_b32 s40, 0x5d8e7cdc
	s_mov_b32 s41, 0xbfd71e95
	v_add_f64 v[113:114], v[64:65], v[36:37]
	v_add_f64 v[0:1], v[64:65], -v[36:37]
	v_add_f64 v[119:120], v[70:71], -v[42:43]
	s_mov_b32 s0, 0x370991
	s_mov_b32 s46, 0x2a9d6da3
	;; [unrolled: 1-line block ×4, first 2 shown]
	v_add_f64 v[115:116], v[66:67], v[38:39]
	v_add_f64 v[109:110], v[68:69], v[40:41]
	v_add_f64 v[117:118], v[68:69], -v[40:41]
	s_mov_b32 s6, 0x75d4884
	s_mov_b32 s7, 0x3fe7a5f6
	v_add_f64 v[111:112], v[70:71], v[42:43]
	s_mov_b32 s44, 0xeb564b22
	s_mov_b32 s45, 0xbfefdd0d
	;; [unrolled: 1-line block ×22, first 2 shown]
	v_mul_f64 v[4:5], v[2:3], s[40:41]
	v_mul_f64 v[8:9], v[2:3], s[46:47]
	;; [unrolled: 1-line block ×10, first 2 shown]
	s_mov_b32 s51, 0x3fe0d888
	s_mov_b32 s50, s30
	v_mul_f64 v[123:124], v[117:118], s[46:47]
	v_mul_f64 v[22:23], v[0:1], s[24:25]
	s_mov_b32 s20, 0x910ea3b9
	s_mov_b32 s21, 0xbfeb34fa
	v_mul_f64 v[28:29], v[2:3], s[26:27]
	s_mov_b32 s49, 0x3feec746
	s_mov_b32 s48, s24
	v_mul_f64 v[30:31], v[0:1], s[26:27]
	v_mul_f64 v[32:33], v[2:3], s[30:31]
	s_mov_b32 s29, 0x3feca52d
	s_mov_b32 s28, s36
	v_mul_f64 v[56:57], v[0:1], s[30:31]
	;; [unrolled: 4-line block ×3, first 2 shown]
	v_add_f64 v[145:146], v[72:73], v[44:45]
	v_add_f64 v[149:150], v[74:75], v[46:47]
	s_mov_b32 s39, 0x3fc7851a
	s_mov_b32 s38, s34
	v_add_f64 v[173:174], v[76:77], v[48:49]
	v_add_f64 v[177:178], v[78:79], v[50:51]
	s_mov_b32 s53, 0x3fe9895b
	s_mov_b32 s52, s26
	v_add_f64 v[201:202], v[84:85], v[52:53]
	v_add_f64 v[203:204], v[86:87], v[54:55]
	scratch_store_b64 off, v[4:5], off offset:4 ; 8-byte Folded Spill
	v_fma_f64 v[4:5], v[113:114], s[0:1], v[4:5]
	scratch_store_b64 off, v[8:9], off offset:28 ; 8-byte Folded Spill
	v_fma_f64 v[8:9], v[113:114], s[6:7], v[8:9]
	scratch_store_b64 off, v[6:7], off offset:12 ; 8-byte Folded Spill
	v_fma_f64 v[6:7], v[115:116], s[0:1], -v[6:7]
	scratch_store_b64 off, v[121:122], off offset:132 ; 8-byte Folded Spill
	v_fma_f64 v[121:122], v[109:110], s[6:7], v[121:122]
	scratch_store_b64 off, v[10:11], off offset:44 ; 8-byte Folded Spill
	v_fma_f64 v[10:11], v[115:116], s[6:7], -v[10:11]
	s_clause 0x3
	scratch_store_b64 off, v[12:13], off offset:60
	scratch_store_b64 off, v[14:15], off offset:68
	;; [unrolled: 1-line block ×4, first 2 shown]
	v_fma_f64 v[12:13], v[113:114], s[10:11], v[12:13]
	v_fma_f64 v[14:15], v[115:116], s[10:11], -v[14:15]
	v_fma_f64 v[16:17], v[113:114], s[14:15], v[16:17]
	v_fma_f64 v[18:19], v[115:116], s[14:15], -v[18:19]
	s_clause 0x3
	scratch_store_b64 off, v[20:21], off offset:92
	scratch_store_b64 off, v[22:23], off offset:108
	;; [unrolled: 1-line block ×4, first 2 shown]
	v_fma_f64 v[20:21], v[113:114], s[16:17], v[20:21]
	v_fma_f64 v[22:23], v[115:116], s[16:17], -v[22:23]
	v_fma_f64 v[28:29], v[113:114], s[18:19], v[28:29]
	v_fma_f64 v[30:31], v[115:116], s[18:19], -v[30:31]
	v_fma_f64 v[34:35], v[113:114], s[20:21], -v[32:33]
	v_fma_f64 v[32:33], v[113:114], s[20:21], v[32:33]
	v_fma_f64 v[58:59], v[115:116], s[20:21], v[56:57]
	v_fma_f64 v[56:57], v[115:116], s[20:21], -v[56:57]
	v_fma_f64 v[80:81], v[113:114], s[22:23], -v[2:3]
	v_fma_f64 v[2:3], v[113:114], s[22:23], v[2:3]
	v_fma_f64 v[82:83], v[115:116], s[22:23], v[0:1]
	v_fma_f64 v[0:1], v[115:116], s[22:23], -v[0:1]
	v_add_f64 v[229:230], v[88:89], v[60:61]
	v_add_f64 v[231:232], v[90:91], v[62:63]
	v_add_f64 v[153:154], v[98:99], -v[94:95]
	v_add_f64 v[209:210], v[102:103], -v[106:107]
	;; [unrolled: 1-line block ×3, first 2 shown]
	v_add_f64 v[4:5], v[24:25], v[4:5]
	v_add_f64 v[8:9], v[24:25], v[8:9]
	;; [unrolled: 1-line block ×20, first 2 shown]
	v_mul_f64 v[167:168], v[153:154], s[28:29]
	v_mul_f64 v[163:164], v[153:154], s[44:45]
	;; [unrolled: 1-line block ×3, first 2 shown]
	v_add_f64 v[4:5], v[121:122], v[4:5]
	v_fma_f64 v[121:122], v[111:112], s[6:7], -v[123:124]
	v_mul_f64 v[171:172], v[153:154], s[34:35]
	v_mul_f64 v[181:182], v[199:200], s[34:35]
	;; [unrolled: 1-line block ×6, first 2 shown]
	v_add_f64 v[6:7], v[121:122], v[6:7]
	v_mul_f64 v[121:122], v[119:120], s[44:45]
	scratch_store_b64 off, v[123:124], off offset:140 ; 8-byte Folded Spill
	v_mul_f64 v[123:124], v[117:118], s[44:45]
	scratch_store_b64 off, v[121:122], off offset:196 ; 8-byte Folded Spill
	v_fma_f64 v[121:122], v[109:110], s[14:15], v[121:122]
	scratch_store_b64 off, v[123:124], off offset:204 ; 8-byte Folded Spill
	v_add_f64 v[8:9], v[121:122], v[8:9]
	v_fma_f64 v[121:122], v[111:112], s[14:15], -v[123:124]
	v_mul_f64 v[123:124], v[117:118], s[26:27]
	s_delay_alu instid0(VALU_DEP_2)
	v_add_f64 v[10:11], v[121:122], v[10:11]
	v_mul_f64 v[121:122], v[119:120], s[26:27]
	s_clause 0x1
	scratch_store_b64 off, v[123:124], off offset:188
	scratch_store_b64 off, v[121:122], off offset:180
	v_fma_f64 v[121:122], v[109:110], s[18:19], v[121:122]
	s_delay_alu instid0(VALU_DEP_1) | instskip(SKIP_2) | instid1(VALU_DEP_2)
	v_add_f64 v[12:13], v[121:122], v[12:13]
	v_fma_f64 v[121:122], v[111:112], s[18:19], -v[123:124]
	v_mul_f64 v[123:124], v[117:118], s[34:35]
	v_add_f64 v[14:15], v[121:122], v[14:15]
	v_mul_f64 v[121:122], v[119:120], s[34:35]
	s_clause 0x1
	scratch_store_b64 off, v[123:124], off offset:172
	scratch_store_b64 off, v[121:122], off offset:164
	v_fma_f64 v[121:122], v[109:110], s[22:23], v[121:122]
	s_delay_alu instid0(VALU_DEP_1) | instskip(SKIP_2) | instid1(VALU_DEP_2)
	v_add_f64 v[16:17], v[121:122], v[16:17]
	v_fma_f64 v[121:122], v[111:112], s[22:23], -v[123:124]
	v_mul_f64 v[123:124], v[117:118], s[50:51]
	v_add_f64 v[18:19], v[121:122], v[18:19]
	v_mul_f64 v[121:122], v[119:120], s[50:51]
	scratch_store_b64 off, v[121:122], off offset:148 ; 8-byte Folded Spill
	v_fma_f64 v[121:122], v[109:110], s[20:21], v[121:122]
	s_delay_alu instid0(VALU_DEP_1) | instskip(SKIP_1) | instid1(VALU_DEP_1)
	v_add_f64 v[20:21], v[121:122], v[20:21]
	v_fma_f64 v[121:122], v[111:112], s[20:21], -v[123:124]
	v_add_f64 v[22:23], v[121:122], v[22:23]
	v_mul_f64 v[121:122], v[119:120], s[48:49]
	scratch_store_b64 off, v[123:124], off offset:156 ; 8-byte Folded Spill
	v_mul_f64 v[123:124], v[117:118], s[48:49]
	scratch_store_b64 off, v[121:122], off offset:212 ; 8-byte Folded Spill
	v_fma_f64 v[121:122], v[109:110], s[16:17], v[121:122]
	scratch_store_b64 off, v[123:124], off offset:220 ; 8-byte Folded Spill
	v_add_f64 v[28:29], v[121:122], v[28:29]
	v_fma_f64 v[121:122], v[111:112], s[16:17], -v[123:124]
	s_delay_alu instid0(VALU_DEP_1) | instskip(SKIP_2) | instid1(VALU_DEP_2)
	v_add_f64 v[30:31], v[121:122], v[30:31]
	v_mul_f64 v[121:122], v[119:120], s[28:29]
	v_mul_f64 v[119:120], v[119:120], s[42:43]
	v_fma_f64 v[123:124], v[109:110], s[10:11], -v[121:122]
	v_fma_f64 v[121:122], v[109:110], s[10:11], v[121:122]
	s_delay_alu instid0(VALU_DEP_2) | instskip(SKIP_1) | instid1(VALU_DEP_3)
	v_add_f64 v[34:35], v[123:124], v[34:35]
	v_mul_f64 v[123:124], v[117:118], s[28:29]
	v_add_f64 v[32:33], v[121:122], v[32:33]
	v_mul_f64 v[117:118], v[117:118], s[42:43]
	s_delay_alu instid0(VALU_DEP_3) | instskip(SKIP_1) | instid1(VALU_DEP_2)
	v_fma_f64 v[121:122], v[111:112], s[10:11], -v[123:124]
	v_fma_f64 v[125:126], v[111:112], s[10:11], v[123:124]
	v_add_f64 v[56:57], v[121:122], v[56:57]
	v_fma_f64 v[121:122], v[109:110], s[0:1], -v[119:120]
	v_fma_f64 v[119:120], v[109:110], s[0:1], v[119:120]
	s_delay_alu instid0(VALU_DEP_4) | instskip(NEXT) | instid1(VALU_DEP_3)
	v_add_f64 v[58:59], v[125:126], v[58:59]
	v_add_f64 v[80:81], v[121:122], v[80:81]
	v_fma_f64 v[121:122], v[111:112], s[0:1], v[117:118]
	s_delay_alu instid0(VALU_DEP_4) | instskip(SKIP_2) | instid1(VALU_DEP_4)
	v_add_f64 v[2:3], v[119:120], v[2:3]
	v_fma_f64 v[117:118], v[111:112], s[0:1], -v[117:118]
	v_add_f64 v[119:120], v[74:75], -v[46:47]
	v_add_f64 v[82:83], v[121:122], v[82:83]
	s_delay_alu instid0(VALU_DEP_3) | instskip(SKIP_1) | instid1(VALU_DEP_4)
	v_add_f64 v[0:1], v[117:118], v[0:1]
	v_add_f64 v[117:118], v[72:73], -v[44:45]
	v_mul_f64 v[121:122], v[119:120], s[36:37]
	s_delay_alu instid0(VALU_DEP_2) | instskip(SKIP_2) | instid1(VALU_DEP_1)
	v_mul_f64 v[123:124], v[117:118], s[36:37]
	scratch_store_b64 off, v[121:122], off offset:228 ; 8-byte Folded Spill
	v_fma_f64 v[121:122], v[145:146], s[10:11], v[121:122]
	v_add_f64 v[4:5], v[121:122], v[4:5]
	v_fma_f64 v[121:122], v[149:150], s[10:11], -v[123:124]
	s_delay_alu instid0(VALU_DEP_1)
	v_add_f64 v[6:7], v[121:122], v[6:7]
	v_mul_f64 v[121:122], v[119:120], s[26:27]
	scratch_store_b64 off, v[123:124], off offset:236 ; 8-byte Folded Spill
	v_mul_f64 v[123:124], v[117:118], s[26:27]
	scratch_store_b64 off, v[121:122], off offset:292 ; 8-byte Folded Spill
	v_fma_f64 v[121:122], v[145:146], s[18:19], v[121:122]
	scratch_store_b64 off, v[123:124], off offset:300 ; 8-byte Folded Spill
	v_add_f64 v[8:9], v[121:122], v[8:9]
	v_fma_f64 v[121:122], v[149:150], s[18:19], -v[123:124]
	v_mul_f64 v[123:124], v[117:118], s[38:39]
	s_delay_alu instid0(VALU_DEP_2)
	v_add_f64 v[10:11], v[121:122], v[10:11]
	v_mul_f64 v[121:122], v[119:120], s[38:39]
	s_mov_b32 s39, 0x3fe58eea
	s_mov_b32 s38, s46
	scratch_store_b64 off, v[123:124], off offset:284 ; 8-byte Folded Spill
	v_mul_f64 v[175:176], v[153:154], s[38:39]
	v_mul_f64 v[193:194], v[199:200], s[38:39]
	scratch_store_b64 off, v[121:122], off offset:276 ; 8-byte Folded Spill
	v_fma_f64 v[121:122], v[145:146], s[22:23], v[121:122]
	s_delay_alu instid0(VALU_DEP_1) | instskip(SKIP_2) | instid1(VALU_DEP_2)
	v_add_f64 v[12:13], v[121:122], v[12:13]
	v_fma_f64 v[121:122], v[149:150], s[22:23], -v[123:124]
	v_mul_f64 v[123:124], v[117:118], s[48:49]
	v_add_f64 v[14:15], v[121:122], v[14:15]
	v_mul_f64 v[121:122], v[119:120], s[48:49]
	s_clause 0x1
	scratch_store_b64 off, v[123:124], off offset:268
	scratch_store_b64 off, v[121:122], off offset:260
	v_fma_f64 v[121:122], v[145:146], s[16:17], v[121:122]
	s_delay_alu instid0(VALU_DEP_1) | instskip(SKIP_2) | instid1(VALU_DEP_2)
	v_add_f64 v[16:17], v[121:122], v[16:17]
	v_fma_f64 v[121:122], v[149:150], s[16:17], -v[123:124]
	v_mul_f64 v[123:124], v[117:118], s[38:39]
	v_add_f64 v[18:19], v[121:122], v[18:19]
	v_mul_f64 v[121:122], v[119:120], s[38:39]
	scratch_store_b64 off, v[121:122], off offset:244 ; 8-byte Folded Spill
	v_fma_f64 v[121:122], v[145:146], s[6:7], v[121:122]
	s_delay_alu instid0(VALU_DEP_1) | instskip(SKIP_1) | instid1(VALU_DEP_1)
	v_add_f64 v[20:21], v[121:122], v[20:21]
	v_fma_f64 v[121:122], v[149:150], s[6:7], -v[123:124]
	v_add_f64 v[22:23], v[121:122], v[22:23]
	v_mul_f64 v[121:122], v[119:120], s[40:41]
	scratch_store_b64 off, v[123:124], off offset:252 ; 8-byte Folded Spill
	v_mul_f64 v[123:124], v[117:118], s[40:41]
	scratch_store_b64 off, v[121:122], off offset:308 ; 8-byte Folded Spill
	v_fma_f64 v[121:122], v[145:146], s[0:1], v[121:122]
	scratch_store_b64 off, v[123:124], off offset:316 ; 8-byte Folded Spill
	v_add_f64 v[28:29], v[121:122], v[28:29]
	v_fma_f64 v[121:122], v[149:150], s[0:1], -v[123:124]
	s_delay_alu instid0(VALU_DEP_1) | instskip(SKIP_2) | instid1(VALU_DEP_2)
	v_add_f64 v[30:31], v[121:122], v[30:31]
	v_mul_f64 v[121:122], v[119:120], s[44:45]
	v_mul_f64 v[119:120], v[119:120], s[30:31]
	v_fma_f64 v[123:124], v[145:146], s[14:15], -v[121:122]
	v_fma_f64 v[121:122], v[145:146], s[14:15], v[121:122]
	s_delay_alu instid0(VALU_DEP_2) | instskip(SKIP_1) | instid1(VALU_DEP_3)
	v_add_f64 v[34:35], v[123:124], v[34:35]
	v_mul_f64 v[123:124], v[117:118], s[44:45]
	v_add_f64 v[32:33], v[121:122], v[32:33]
	v_mul_f64 v[117:118], v[117:118], s[30:31]
	s_delay_alu instid0(VALU_DEP_3) | instskip(SKIP_1) | instid1(VALU_DEP_2)
	v_fma_f64 v[121:122], v[149:150], s[14:15], -v[123:124]
	v_fma_f64 v[125:126], v[149:150], s[14:15], v[123:124]
	v_add_f64 v[56:57], v[121:122], v[56:57]
	v_fma_f64 v[121:122], v[145:146], s[20:21], -v[119:120]
	v_fma_f64 v[119:120], v[145:146], s[20:21], v[119:120]
	s_delay_alu instid0(VALU_DEP_4) | instskip(NEXT) | instid1(VALU_DEP_3)
	v_add_f64 v[58:59], v[125:126], v[58:59]
	v_add_f64 v[80:81], v[121:122], v[80:81]
	v_fma_f64 v[121:122], v[149:150], s[20:21], v[117:118]
	s_delay_alu instid0(VALU_DEP_4) | instskip(SKIP_2) | instid1(VALU_DEP_4)
	v_add_f64 v[2:3], v[119:120], v[2:3]
	v_fma_f64 v[117:118], v[149:150], s[20:21], -v[117:118]
	v_add_f64 v[119:120], v[78:79], -v[50:51]
	v_add_f64 v[82:83], v[121:122], v[82:83]
	s_delay_alu instid0(VALU_DEP_3) | instskip(SKIP_1) | instid1(VALU_DEP_4)
	v_add_f64 v[0:1], v[117:118], v[0:1]
	v_add_f64 v[117:118], v[76:77], -v[48:49]
	v_mul_f64 v[121:122], v[119:120], s[44:45]
	v_mul_f64 v[221:222], v[119:120], s[30:31]
	s_delay_alu instid0(VALU_DEP_3) | instskip(SKIP_3) | instid1(VALU_DEP_2)
	v_mul_f64 v[123:124], v[117:118], s[44:45]
	scratch_store_b64 off, v[121:122], off offset:324 ; 8-byte Folded Spill
	v_fma_f64 v[121:122], v[173:174], s[14:15], v[121:122]
	v_mul_f64 v[227:228], v[117:118], s[30:31]
	v_add_f64 v[4:5], v[121:122], v[4:5]
	v_fma_f64 v[121:122], v[177:178], s[14:15], -v[123:124]
	s_delay_alu instid0(VALU_DEP_1)
	v_add_f64 v[6:7], v[121:122], v[6:7]
	v_mul_f64 v[121:122], v[119:120], s[34:35]
	scratch_store_b64 off, v[123:124], off offset:332 ; 8-byte Folded Spill
	v_mul_f64 v[123:124], v[117:118], s[34:35]
	scratch_store_b64 off, v[121:122], off offset:388 ; 8-byte Folded Spill
	v_fma_f64 v[121:122], v[173:174], s[22:23], v[121:122]
	scratch_store_b64 off, v[123:124], off offset:396 ; 8-byte Folded Spill
	v_add_f64 v[8:9], v[121:122], v[8:9]
	v_fma_f64 v[121:122], v[177:178], s[22:23], -v[123:124]
	v_mul_f64 v[123:124], v[117:118], s[48:49]
	s_delay_alu instid0(VALU_DEP_2)
	v_add_f64 v[10:11], v[121:122], v[10:11]
	v_mul_f64 v[121:122], v[119:120], s[48:49]
	s_clause 0x1
	scratch_store_b64 off, v[123:124], off offset:380
	scratch_store_b64 off, v[121:122], off offset:372
	v_fma_f64 v[121:122], v[173:174], s[16:17], v[121:122]
	s_delay_alu instid0(VALU_DEP_1) | instskip(SKIP_2) | instid1(VALU_DEP_2)
	v_add_f64 v[12:13], v[121:122], v[12:13]
	v_fma_f64 v[121:122], v[177:178], s[16:17], -v[123:124]
	v_mul_f64 v[123:124], v[117:118], s[42:43]
	v_add_f64 v[14:15], v[121:122], v[14:15]
	v_mul_f64 v[121:122], v[119:120], s[42:43]
	s_clause 0x1
	scratch_store_b64 off, v[123:124], off offset:364
	scratch_store_b64 off, v[121:122], off offset:356
	v_fma_f64 v[121:122], v[173:174], s[0:1], v[121:122]
	s_delay_alu instid0(VALU_DEP_1) | instskip(SKIP_2) | instid1(VALU_DEP_2)
	v_add_f64 v[16:17], v[121:122], v[16:17]
	v_fma_f64 v[121:122], v[177:178], s[0:1], -v[123:124]
	v_mul_f64 v[123:124], v[117:118], s[36:37]
	v_add_f64 v[18:19], v[121:122], v[18:19]
	v_mul_f64 v[121:122], v[119:120], s[36:37]
	s_clause 0x1
	scratch_store_b64 off, v[123:124], off offset:348
	scratch_store_b64 off, v[121:122], off offset:340
	v_fma_f64 v[121:122], v[173:174], s[10:11], v[121:122]
	s_waitcnt_vscnt null, 0x0
	s_barrier
	buffer_gl0_inv
	v_add_f64 v[20:21], v[121:122], v[20:21]
	v_fma_f64 v[121:122], v[177:178], s[10:11], -v[123:124]
	s_delay_alu instid0(VALU_DEP_1) | instskip(SKIP_1) | instid1(VALU_DEP_1)
	v_add_f64 v[22:23], v[121:122], v[22:23]
	v_fma_f64 v[121:122], v[173:174], s[20:21], v[221:222]
	v_add_f64 v[28:29], v[121:122], v[28:29]
	v_fma_f64 v[121:122], v[177:178], s[20:21], -v[227:228]
	s_delay_alu instid0(VALU_DEP_1) | instskip(SKIP_2) | instid1(VALU_DEP_2)
	v_add_f64 v[30:31], v[121:122], v[30:31]
	v_mul_f64 v[121:122], v[119:120], s[52:53]
	v_mul_f64 v[119:120], v[119:120], s[38:39]
	v_fma_f64 v[123:124], v[173:174], s[18:19], -v[121:122]
	v_fma_f64 v[121:122], v[173:174], s[18:19], v[121:122]
	s_delay_alu instid0(VALU_DEP_2) | instskip(SKIP_1) | instid1(VALU_DEP_3)
	v_add_f64 v[34:35], v[123:124], v[34:35]
	v_mul_f64 v[123:124], v[117:118], s[52:53]
	v_add_f64 v[32:33], v[121:122], v[32:33]
	v_mul_f64 v[117:118], v[117:118], s[38:39]
	s_delay_alu instid0(VALU_DEP_3) | instskip(SKIP_1) | instid1(VALU_DEP_2)
	v_fma_f64 v[121:122], v[177:178], s[18:19], -v[123:124]
	v_fma_f64 v[125:126], v[177:178], s[18:19], v[123:124]
	v_add_f64 v[56:57], v[121:122], v[56:57]
	v_fma_f64 v[121:122], v[173:174], s[6:7], -v[119:120]
	v_fma_f64 v[119:120], v[173:174], s[6:7], v[119:120]
	s_delay_alu instid0(VALU_DEP_4) | instskip(NEXT) | instid1(VALU_DEP_3)
	v_add_f64 v[58:59], v[125:126], v[58:59]
	v_add_f64 v[80:81], v[121:122], v[80:81]
	v_fma_f64 v[121:122], v[177:178], s[6:7], v[117:118]
	s_delay_alu instid0(VALU_DEP_4) | instskip(SKIP_2) | instid1(VALU_DEP_4)
	v_add_f64 v[2:3], v[119:120], v[2:3]
	v_fma_f64 v[117:118], v[177:178], s[6:7], -v[117:118]
	v_add_f64 v[119:120], v[86:87], -v[54:55]
	v_add_f64 v[82:83], v[121:122], v[82:83]
	s_delay_alu instid0(VALU_DEP_3) | instskip(SKIP_1) | instid1(VALU_DEP_4)
	v_add_f64 v[0:1], v[117:118], v[0:1]
	v_add_f64 v[117:118], v[84:85], -v[52:53]
	v_mul_f64 v[223:224], v[119:120], s[24:25]
	v_mul_f64 v[245:246], v[119:120], s[50:51]
	;; [unrolled: 1-line block ×6, first 2 shown]
	v_fma_f64 v[121:122], v[201:202], s[16:17], v[223:224]
	v_mul_f64 v[247:248], v[117:118], s[50:51]
	v_mul_f64 v[243:244], v[117:118], s[38:39]
	;; [unrolled: 1-line block ×4, first 2 shown]
	s_mov_b32 s37, 0x3fefdd0d
	s_mov_b32 s36, s44
	s_delay_alu instid0(SALU_CYCLE_1) | instskip(SKIP_3) | instid1(VALU_DEP_1)
	v_mul_f64 v[249:250], v[119:120], s[36:37]
	v_mul_f64 v[218:219], v[117:118], s[36:37]
	v_add_f64 v[4:5], v[121:122], v[4:5]
	v_fma_f64 v[121:122], v[203:204], s[16:17], -v[225:226]
	v_add_f64 v[6:7], v[121:122], v[6:7]
	v_fma_f64 v[121:122], v[201:202], s[20:21], v[245:246]
	s_delay_alu instid0(VALU_DEP_1) | instskip(SKIP_1) | instid1(VALU_DEP_1)
	v_add_f64 v[8:9], v[121:122], v[8:9]
	v_fma_f64 v[121:122], v[203:204], s[20:21], -v[247:248]
	v_add_f64 v[10:11], v[121:122], v[10:11]
	v_fma_f64 v[121:122], v[201:202], s[6:7], v[241:242]
	s_delay_alu instid0(VALU_DEP_1) | instskip(SKIP_1) | instid1(VALU_DEP_1)
	;; [unrolled: 5-line block ×5, first 2 shown]
	v_add_f64 v[28:29], v[121:122], v[28:29]
	v_fma_f64 v[121:122], v[203:204], s[14:15], -v[218:219]
	v_add_f64 v[30:31], v[121:122], v[30:31]
	v_mul_f64 v[121:122], v[119:120], s[40:41]
	v_mul_f64 v[119:120], v[119:120], s[26:27]
	s_delay_alu instid0(VALU_DEP_2) | instskip(SKIP_1) | instid1(VALU_DEP_2)
	v_fma_f64 v[123:124], v[201:202], s[0:1], -v[121:122]
	v_fma_f64 v[121:122], v[201:202], s[0:1], v[121:122]
	v_add_f64 v[34:35], v[123:124], v[34:35]
	v_mul_f64 v[123:124], v[117:118], s[40:41]
	s_delay_alu instid0(VALU_DEP_3) | instskip(SKIP_1) | instid1(VALU_DEP_3)
	v_add_f64 v[32:33], v[121:122], v[32:33]
	v_mul_f64 v[117:118], v[117:118], s[26:27]
	v_fma_f64 v[121:122], v[203:204], s[0:1], -v[123:124]
	v_fma_f64 v[125:126], v[203:204], s[0:1], v[123:124]
	s_delay_alu instid0(VALU_DEP_2) | instskip(SKIP_2) | instid1(VALU_DEP_4)
	v_add_f64 v[56:57], v[121:122], v[56:57]
	v_fma_f64 v[121:122], v[201:202], s[18:19], -v[119:120]
	v_fma_f64 v[119:120], v[201:202], s[18:19], v[119:120]
	v_add_f64 v[58:59], v[125:126], v[58:59]
	s_delay_alu instid0(VALU_DEP_3) | instskip(SKIP_1) | instid1(VALU_DEP_4)
	v_add_f64 v[80:81], v[121:122], v[80:81]
	v_fma_f64 v[121:122], v[203:204], s[18:19], v[117:118]
	v_add_f64 v[2:3], v[119:120], v[2:3]
	v_fma_f64 v[117:118], v[203:204], s[18:19], -v[117:118]
	v_add_f64 v[119:120], v[88:89], -v[60:61]
	s_delay_alu instid0(VALU_DEP_4) | instskip(SKIP_1) | instid1(VALU_DEP_4)
	v_add_f64 v[82:83], v[121:122], v[82:83]
	v_add_f64 v[121:122], v[90:91], -v[62:63]
	v_add_f64 v[0:1], v[117:118], v[0:1]
	s_delay_alu instid0(VALU_DEP_4)
	v_mul_f64 v[117:118], v[119:120], s[26:27]
	v_mul_f64 v[137:138], v[119:120], s[48:49]
	;; [unrolled: 1-line block ×11, first 2 shown]
	v_fma_f64 v[123:124], v[229:230], s[18:19], v[251:252]
	s_delay_alu instid0(VALU_DEP_1) | instskip(SKIP_1) | instid1(VALU_DEP_1)
	v_add_f64 v[4:5], v[123:124], v[4:5]
	v_fma_f64 v[123:124], v[231:232], s[18:19], -v[117:118]
	v_add_f64 v[6:7], v[123:124], v[6:7]
	v_fma_f64 v[123:124], v[229:230], s[16:17], v[135:136]
	s_delay_alu instid0(VALU_DEP_1) | instskip(SKIP_1) | instid1(VALU_DEP_1)
	v_add_f64 v[8:9], v[123:124], v[8:9]
	v_fma_f64 v[123:124], v[231:232], s[16:17], -v[137:138]
	v_add_f64 v[10:11], v[123:124], v[10:11]
	v_fma_f64 v[123:124], v[229:230], s[0:1], v[131:132]
	s_delay_alu instid0(VALU_DEP_1) | instskip(SKIP_1) | instid1(VALU_DEP_1)
	v_add_f64 v[12:13], v[123:124], v[12:13]
	v_fma_f64 v[123:124], v[231:232], s[0:1], -v[133:134]
	v_add_f64 v[14:15], v[123:124], v[14:15]
	v_fma_f64 v[123:124], v[229:230], s[20:21], v[127:128]
	s_delay_alu instid0(VALU_DEP_1) | instskip(SKIP_1) | instid1(VALU_DEP_1)
	v_add_f64 v[16:17], v[123:124], v[16:17]
	v_fma_f64 v[123:124], v[231:232], s[20:21], -v[129:130]
	v_add_f64 v[18:19], v[123:124], v[18:19]
	v_mul_f64 v[123:124], v[121:122], s[36:37]
	s_delay_alu instid0(VALU_DEP_1) | instskip(NEXT) | instid1(VALU_DEP_1)
	v_fma_f64 v[139:140], v[229:230], s[14:15], v[123:124]
	v_add_f64 v[20:21], v[139:140], v[20:21]
	v_fma_f64 v[139:140], v[231:232], s[14:15], -v[125:126]
	s_delay_alu instid0(VALU_DEP_1) | instskip(SKIP_1) | instid1(VALU_DEP_1)
	v_add_f64 v[22:23], v[139:140], v[22:23]
	v_fma_f64 v[139:140], v[229:230], s[6:7], v[143:144]
	v_add_f64 v[28:29], v[139:140], v[28:29]
	v_fma_f64 v[139:140], v[231:232], s[6:7], -v[147:148]
	s_delay_alu instid0(VALU_DEP_1) | instskip(SKIP_2) | instid1(VALU_DEP_2)
	v_add_f64 v[30:31], v[139:140], v[30:31]
	v_mul_f64 v[139:140], v[121:122], s[34:35]
	v_mul_f64 v[121:122], v[121:122], s[28:29]
	v_fma_f64 v[141:142], v[229:230], s[22:23], -v[139:140]
	v_fma_f64 v[139:140], v[229:230], s[22:23], v[139:140]
	s_delay_alu instid0(VALU_DEP_2) | instskip(SKIP_1) | instid1(VALU_DEP_3)
	v_add_f64 v[34:35], v[141:142], v[34:35]
	v_mul_f64 v[141:142], v[119:120], s[34:35]
	v_add_f64 v[32:33], v[139:140], v[32:33]
	v_mul_f64 v[119:120], v[119:120], s[28:29]
	s_delay_alu instid0(VALU_DEP_3) | instskip(SKIP_1) | instid1(VALU_DEP_2)
	v_fma_f64 v[139:140], v[231:232], s[22:23], -v[141:142]
	v_fma_f64 v[151:152], v[231:232], s[22:23], v[141:142]
	v_add_f64 v[56:57], v[139:140], v[56:57]
	v_fma_f64 v[139:140], v[229:230], s[10:11], -v[121:122]
	s_delay_alu instid0(VALU_DEP_3) | instskip(SKIP_2) | instid1(VALU_DEP_4)
	v_add_f64 v[58:59], v[151:152], v[58:59]
	v_fma_f64 v[121:122], v[229:230], s[10:11], v[121:122]
	v_add_f64 v[151:152], v[96:97], -v[92:93]
	v_add_f64 v[80:81], v[139:140], v[80:81]
	v_fma_f64 v[139:140], v[231:232], s[10:11], v[119:120]
	v_fma_f64 v[119:120], v[231:232], s[10:11], -v[119:120]
	v_add_f64 v[2:3], v[121:122], v[2:3]
	v_add_f64 v[121:122], v[98:99], v[94:95]
	v_mul_f64 v[141:142], v[151:152], s[30:31]
	v_mul_f64 v[169:170], v[151:152], s[28:29]
	;; [unrolled: 1-line block ×6, first 2 shown]
	v_add_f64 v[82:83], v[139:140], v[82:83]
	v_add_f64 v[0:1], v[119:120], v[0:1]
	;; [unrolled: 1-line block ×3, first 2 shown]
	v_mul_f64 v[139:140], v[153:154], s[30:31]
	s_delay_alu instid0(VALU_DEP_1) | instskip(NEXT) | instid1(VALU_DEP_1)
	v_fma_f64 v[155:156], v[119:120], s[20:21], v[139:140]
	v_add_f64 v[4:5], v[155:156], v[4:5]
	v_fma_f64 v[155:156], v[121:122], s[20:21], -v[141:142]
	s_delay_alu instid0(VALU_DEP_1) | instskip(SKIP_1) | instid1(VALU_DEP_1)
	v_add_f64 v[6:7], v[155:156], v[6:7]
	v_fma_f64 v[155:156], v[119:120], s[10:11], v[167:168]
	v_add_f64 v[187:188], v[155:156], v[8:9]
	v_fma_f64 v[8:9], v[121:122], s[10:11], -v[169:170]
	v_mul_f64 v[155:156], v[153:154], s[40:41]
	v_mul_f64 v[153:154], v[153:154], s[24:25]
	s_delay_alu instid0(VALU_DEP_3) | instskip(SKIP_2) | instid1(VALU_DEP_2)
	v_add_f64 v[189:190], v[8:9], v[10:11]
	v_fma_f64 v[8:9], v[119:120], s[14:15], v[163:164]
	v_fma_f64 v[10:11], v[121:122], s[14:15], -v[165:166]
	v_add_f64 v[8:9], v[8:9], v[12:13]
	v_fma_f64 v[12:13], v[119:120], s[18:19], v[159:160]
	s_delay_alu instid0(VALU_DEP_3) | instskip(SKIP_1) | instid1(VALU_DEP_3)
	v_add_f64 v[10:11], v[10:11], v[14:15]
	v_fma_f64 v[14:15], v[121:122], s[18:19], -v[161:162]
	v_add_f64 v[12:13], v[12:13], v[16:17]
	v_fma_f64 v[16:17], v[119:120], s[0:1], v[155:156]
	s_delay_alu instid0(VALU_DEP_3) | instskip(SKIP_1) | instid1(VALU_DEP_3)
	v_add_f64 v[14:15], v[14:15], v[18:19]
	;; [unrolled: 5-line block ×3, first 2 shown]
	v_fma_f64 v[22:23], v[121:122], s[22:23], -v[179:180]
	v_add_f64 v[20:21], v[20:21], v[28:29]
	v_fma_f64 v[28:29], v[119:120], s[6:7], -v[175:176]
	s_delay_alu instid0(VALU_DEP_3) | instskip(NEXT) | instid1(VALU_DEP_2)
	v_add_f64 v[22:23], v[22:23], v[30:31]
	v_add_f64 v[28:29], v[28:29], v[34:35]
	v_mul_f64 v[34:35], v[151:152], s[38:39]
	v_mul_f64 v[151:152], v[151:152], s[24:25]
	s_delay_alu instid0(VALU_DEP_2) | instskip(SKIP_1) | instid1(VALU_DEP_2)
	v_fma_f64 v[30:31], v[121:122], s[6:7], v[34:35]
	v_fma_f64 v[34:35], v[121:122], s[6:7], -v[34:35]
	v_add_f64 v[30:31], v[30:31], v[58:59]
	s_delay_alu instid0(VALU_DEP_2) | instskip(SKIP_3) | instid1(VALU_DEP_3)
	v_add_f64 v[34:35], v[34:35], v[56:57]
	v_fma_f64 v[56:57], v[119:120], s[16:17], -v[153:154]
	v_fma_f64 v[58:59], v[119:120], s[6:7], v[175:176]
	v_mul_f64 v[175:176], v[209:210], s[34:35]
	v_add_f64 v[56:57], v[56:57], v[80:81]
	v_fma_f64 v[80:81], v[119:120], s[16:17], v[153:154]
	s_delay_alu instid0(VALU_DEP_4) | instskip(SKIP_2) | instid1(VALU_DEP_4)
	v_add_f64 v[32:33], v[58:59], v[32:33]
	v_fma_f64 v[58:59], v[121:122], s[16:17], v[151:152]
	v_add_f64 v[153:154], v[102:103], v[106:107]
	v_add_f64 v[80:81], v[80:81], v[2:3]
	v_fma_f64 v[2:3], v[121:122], s[16:17], -v[151:152]
	v_add_f64 v[151:152], v[100:101], v[104:105]
	v_add_f64 v[58:59], v[58:59], v[82:83]
	s_delay_alu instid0(VALU_DEP_3) | instskip(NEXT) | instid1(VALU_DEP_3)
	v_add_f64 v[82:83], v[2:3], v[0:1]
	v_fma_f64 v[0:1], v[151:152], s[22:23], v[175:176]
	v_fma_f64 v[2:3], v[153:154], s[22:23], -v[181:182]
	s_delay_alu instid0(VALU_DEP_2) | instskip(SKIP_1) | instid1(VALU_DEP_3)
	v_add_f64 v[0:1], v[0:1], v[4:5]
	v_fma_f64 v[4:5], v[151:152], s[0:1], v[183:184]
	v_add_f64 v[2:3], v[2:3], v[6:7]
	v_fma_f64 v[6:7], v[153:154], s[0:1], -v[185:186]
	s_delay_alu instid0(VALU_DEP_3) | instskip(SKIP_1) | instid1(VALU_DEP_3)
	v_add_f64 v[4:5], v[4:5], v[187:188]
	v_mul_f64 v[187:188], v[209:210], s[30:31]
	v_add_f64 v[6:7], v[6:7], v[189:190]
	v_mul_f64 v[189:190], v[199:200], s[30:31]
	s_delay_alu instid0(VALU_DEP_3) | instskip(NEXT) | instid1(VALU_DEP_1)
	v_fma_f64 v[191:192], v[151:152], s[20:21], v[187:188]
	v_add_f64 v[8:9], v[191:192], v[8:9]
	s_delay_alu instid0(VALU_DEP_3) | instskip(NEXT) | instid1(VALU_DEP_1)
	v_fma_f64 v[191:192], v[153:154], s[20:21], -v[189:190]
	v_add_f64 v[10:11], v[191:192], v[10:11]
	v_mul_f64 v[191:192], v[209:210], s[38:39]
	s_delay_alu instid0(VALU_DEP_1) | instskip(NEXT) | instid1(VALU_DEP_1)
	v_fma_f64 v[195:196], v[151:152], s[6:7], v[191:192]
	v_add_f64 v[12:13], v[195:196], v[12:13]
	v_fma_f64 v[195:196], v[153:154], s[6:7], -v[193:194]
	s_delay_alu instid0(VALU_DEP_1) | instskip(SKIP_1) | instid1(VALU_DEP_1)
	v_add_f64 v[14:15], v[195:196], v[14:15]
	v_mul_f64 v[195:196], v[209:210], s[26:27]
	v_fma_f64 v[205:206], v[151:152], s[18:19], v[195:196]
	s_delay_alu instid0(VALU_DEP_1) | instskip(SKIP_1) | instid1(VALU_DEP_1)
	v_add_f64 v[16:17], v[205:206], v[16:17]
	v_fma_f64 v[205:206], v[153:154], s[18:19], -v[197:198]
	v_add_f64 v[18:19], v[205:206], v[18:19]
	v_mul_f64 v[205:206], v[209:210], s[28:29]
	s_delay_alu instid0(VALU_DEP_1) | instskip(NEXT) | instid1(VALU_DEP_1)
	v_fma_f64 v[212:213], v[151:152], s[10:11], v[205:206]
	v_add_f64 v[20:21], v[212:213], v[20:21]
	v_fma_f64 v[212:213], v[153:154], s[10:11], -v[207:208]
	s_delay_alu instid0(VALU_DEP_1) | instskip(SKIP_2) | instid1(VALU_DEP_2)
	v_add_f64 v[22:23], v[212:213], v[22:23]
	v_mul_f64 v[212:213], v[209:210], s[24:25]
	v_mul_f64 v[209:210], v[209:210], s[36:37]
	v_fma_f64 v[214:215], v[151:152], s[16:17], -v[212:213]
	v_fma_f64 v[212:213], v[151:152], s[16:17], v[212:213]
	s_delay_alu instid0(VALU_DEP_2) | instskip(SKIP_1) | instid1(VALU_DEP_3)
	v_add_f64 v[28:29], v[214:215], v[28:29]
	v_mul_f64 v[214:215], v[199:200], s[24:25]
	v_add_f64 v[32:33], v[212:213], v[32:33]
	v_mul_f64 v[199:200], v[199:200], s[36:37]
	s_delay_alu instid0(VALU_DEP_3) | instskip(SKIP_1) | instid1(VALU_DEP_2)
	v_fma_f64 v[212:213], v[153:154], s[16:17], -v[214:215]
	v_fma_f64 v[216:217], v[153:154], s[16:17], v[214:215]
	v_add_f64 v[34:35], v[212:213], v[34:35]
	v_fma_f64 v[212:213], v[151:152], s[14:15], -v[209:210]
	v_fma_f64 v[209:210], v[151:152], s[14:15], v[209:210]
	s_delay_alu instid0(VALU_DEP_4) | instskip(NEXT) | instid1(VALU_DEP_3)
	v_add_f64 v[30:31], v[216:217], v[30:31]
	v_add_f64 v[56:57], v[212:213], v[56:57]
	v_fma_f64 v[212:213], v[153:154], s[14:15], v[199:200]
	v_fma_f64 v[199:200], v[153:154], s[14:15], -v[199:200]
	v_add_f64 v[80:81], v[209:210], v[80:81]
	s_delay_alu instid0(VALU_DEP_3) | instskip(NEXT) | instid1(VALU_DEP_3)
	v_add_f64 v[58:59], v[212:213], v[58:59]
	v_add_f64 v[82:83], v[199:200], v[82:83]
	v_mul_lo_u16 v199, v255, 17
	s_and_saveexec_b32 s24, vcc_lo
	s_cbranch_execz .LBB0_7
; %bb.6:
	v_add_f64 v[66:67], v[66:67], v[26:27]
	v_add_f64 v[64:65], v[64:65], v[24:25]
	s_delay_alu instid0(VALU_DEP_2) | instskip(NEXT) | instid1(VALU_DEP_2)
	v_add_f64 v[66:67], v[70:71], v[66:67]
	v_add_f64 v[64:65], v[68:69], v[64:65]
	scratch_load_b64 v[68:69], off, off offset:4 ; 8-byte Folded Reload
	v_add_f64 v[66:67], v[74:75], v[66:67]
	v_add_f64 v[64:65], v[72:73], v[64:65]
	v_mul_f64 v[72:73], v[145:146], s[0:1]
	scratch_load_b64 v[74:75], off, off offset:308 ; 8-byte Folded Reload
	v_add_f64 v[66:67], v[78:79], v[66:67]
	v_add_f64 v[64:65], v[76:77], v[64:65]
	scratch_load_b64 v[76:77], off, off offset:212 ; 8-byte Folded Reload
	v_mul_f64 v[78:79], v[201:202], s[14:15]
	v_add_f64 v[66:67], v[86:87], v[66:67]
	v_add_f64 v[64:65], v[84:85], v[64:65]
	v_mul_f64 v[84:85], v[231:232], s[6:7]
	s_delay_alu instid0(VALU_DEP_4) | instskip(NEXT) | instid1(VALU_DEP_4)
	v_add_f64 v[78:79], v[78:79], -v[249:250]
	v_add_f64 v[66:67], v[66:67], v[90:91]
	s_delay_alu instid0(VALU_DEP_4) | instskip(NEXT) | instid1(VALU_DEP_4)
	v_add_f64 v[64:65], v[88:89], v[64:65]
	v_add_f64 v[84:85], v[147:148], v[84:85]
	s_delay_alu instid0(VALU_DEP_3) | instskip(NEXT) | instid1(VALU_DEP_3)
	v_add_f64 v[66:67], v[66:67], v[98:99]
	v_add_f64 v[64:65], v[96:97], v[64:65]
	s_delay_alu instid0(VALU_DEP_2) | instskip(NEXT) | instid1(VALU_DEP_2)
	v_add_f64 v[66:67], v[66:67], v[102:103]
	v_add_f64 v[64:65], v[64:65], v[100:101]
	s_delay_alu instid0(VALU_DEP_2) | instskip(NEXT) | instid1(VALU_DEP_2)
	;; [unrolled: 3-line block ×4, first 2 shown]
	v_add_f64 v[62:63], v[66:67], v[62:63]
	v_add_f64 v[60:61], v[64:65], v[60:61]
	s_clause 0x1
	scratch_load_b64 v[64:65], off, off offset:28
	scratch_load_b64 v[66:67], off, off offset:12
	s_waitcnt vmcnt(3)
	v_add_f64 v[72:73], v[72:73], -v[74:75]
	v_mul_f64 v[74:75], v[109:110], s[16:17]
	v_add_f64 v[54:55], v[62:63], v[54:55]
	v_add_f64 v[52:53], v[60:61], v[52:53]
	s_clause 0x1
	scratch_load_b64 v[60:61], off, off offset:60
	scratch_load_b64 v[62:63], off, off offset:44
	s_waitcnt vmcnt(4)
	v_add_f64 v[74:75], v[74:75], -v[76:77]
	v_mul_f64 v[76:77], v[203:204], s[14:15]
	v_add_f64 v[50:51], v[54:55], v[50:51]
	v_add_f64 v[48:49], v[52:53], v[48:49]
	s_clause 0x1
	scratch_load_b64 v[52:53], off, off offset:76
	scratch_load_b64 v[54:55], off, off offset:68
	v_add_f64 v[76:77], v[218:219], v[76:77]
	v_add_f64 v[46:47], v[50:51], v[46:47]
	;; [unrolled: 1-line block ×3, first 2 shown]
	s_clause 0x1
	scratch_load_b64 v[48:49], off, off offset:92
	scratch_load_b64 v[50:51], off, off offset:84
	v_add_f64 v[42:43], v[46:47], v[42:43]
	v_add_f64 v[40:41], v[44:45], v[40:41]
	s_clause 0x1
	scratch_load_b64 v[44:45], off, off offset:116
	scratch_load_b64 v[46:47], off, off offset:108
	v_add_f64 v[38:39], v[42:43], v[38:39]
	scratch_load_b64 v[42:43], off, off offset:124 ; 8-byte Folded Reload
	v_add_f64 v[36:37], v[40:41], v[36:37]
	v_mul_f64 v[40:41], v[115:116], s[18:19]
	s_waitcnt vmcnt(0)
	s_delay_alu instid0(VALU_DEP_1) | instskip(SKIP_1) | instid1(VALU_DEP_2)
	v_add_f64 v[40:41], v[42:43], v[40:41]
	v_mul_f64 v[42:43], v[113:114], s[18:19]
	v_add_f64 v[40:41], v[26:27], v[40:41]
	s_delay_alu instid0(VALU_DEP_2) | instskip(SKIP_1) | instid1(VALU_DEP_2)
	v_add_f64 v[42:43], v[42:43], -v[44:45]
	v_mul_f64 v[44:45], v[115:116], s[16:17]
	v_add_f64 v[42:43], v[24:25], v[42:43]
	s_delay_alu instid0(VALU_DEP_2) | instskip(SKIP_1) | instid1(VALU_DEP_3)
	v_add_f64 v[44:45], v[46:47], v[44:45]
	v_mul_f64 v[46:47], v[113:114], s[16:17]
	v_add_f64 v[42:43], v[74:75], v[42:43]
	scratch_load_b64 v[74:75], off, off offset:292 ; 8-byte Folded Reload
	v_add_f64 v[46:47], v[46:47], -v[48:49]
	v_mul_f64 v[48:49], v[115:116], s[14:15]
	s_delay_alu instid0(VALU_DEP_2) | instskip(NEXT) | instid1(VALU_DEP_2)
	v_add_f64 v[70:71], v[24:25], v[46:47]
	v_add_f64 v[48:49], v[50:51], v[48:49]
	v_mul_f64 v[50:51], v[113:114], s[14:15]
	s_delay_alu instid0(VALU_DEP_2) | instskip(NEXT) | instid1(VALU_DEP_2)
	v_add_f64 v[48:49], v[26:27], v[48:49]
	v_add_f64 v[50:51], v[50:51], -v[52:53]
	v_mul_f64 v[52:53], v[115:116], s[10:11]
	s_delay_alu instid0(VALU_DEP_2) | instskip(NEXT) | instid1(VALU_DEP_2)
	v_add_f64 v[50:51], v[24:25], v[50:51]
	v_add_f64 v[52:53], v[54:55], v[52:53]
	v_mul_f64 v[54:55], v[113:114], s[10:11]
	s_delay_alu instid0(VALU_DEP_1) | instskip(SKIP_1) | instid1(VALU_DEP_2)
	v_add_f64 v[54:55], v[54:55], -v[60:61]
	v_mul_f64 v[60:61], v[115:116], s[6:7]
	v_add_f64 v[46:47], v[24:25], v[54:55]
	s_delay_alu instid0(VALU_DEP_2) | instskip(SKIP_1) | instid1(VALU_DEP_1)
	v_add_f64 v[60:61], v[62:63], v[60:61]
	v_mul_f64 v[62:63], v[113:114], s[6:7]
	v_add_f64 v[62:63], v[62:63], -v[64:65]
	v_mul_f64 v[64:65], v[115:116], s[0:1]
	s_delay_alu instid0(VALU_DEP_2) | instskip(NEXT) | instid1(VALU_DEP_2)
	v_add_f64 v[54:55], v[24:25], v[62:63]
	v_add_f64 v[64:65], v[66:67], v[64:65]
	v_mul_f64 v[66:67], v[113:114], s[0:1]
	s_delay_alu instid0(VALU_DEP_1)
	v_add_f64 v[66:67], v[66:67], -v[68:69]
	v_add_f64 v[68:69], v[26:27], v[44:45]
	v_add_f64 v[44:45], v[26:27], v[52:53]
	;; [unrolled: 1-line block ×4, first 2 shown]
	scratch_load_b64 v[64:65], off, off offset:316 ; 8-byte Folded Reload
	v_mul_f64 v[26:27], v[149:150], s[0:1]
	v_add_f64 v[62:63], v[24:25], v[66:67]
	scratch_load_b64 v[66:67], off, off offset:220 ; 8-byte Folded Reload
	v_mul_f64 v[24:25], v[177:178], s[20:21]
	s_delay_alu instid0(VALU_DEP_1) | instskip(SKIP_4) | instid1(VALU_DEP_1)
	v_add_f64 v[24:25], v[227:228], v[24:25]
	s_waitcnt vmcnt(1)
	v_add_f64 v[26:27], v[64:65], v[26:27]
	v_mul_f64 v[64:65], v[111:112], s[16:17]
	s_waitcnt vmcnt(0)
	v_add_f64 v[64:65], v[66:67], v[64:65]
	v_mul_f64 v[66:67], v[173:174], s[20:21]
	s_delay_alu instid0(VALU_DEP_2) | instskip(NEXT) | instid1(VALU_DEP_2)
	v_add_f64 v[40:41], v[64:65], v[40:41]
	v_add_f64 v[66:67], v[66:67], -v[221:222]
	v_mul_f64 v[64:65], v[229:230], s[6:7]
	s_delay_alu instid0(VALU_DEP_3) | instskip(SKIP_1) | instid1(VALU_DEP_3)
	v_add_f64 v[26:27], v[26:27], v[40:41]
	v_add_f64 v[40:41], v[72:73], v[42:43]
	v_add_f64 v[64:65], v[64:65], -v[143:144]
	v_mul_f64 v[42:43], v[121:122], s[22:23]
	scratch_load_b64 v[72:73], off, off offset:388 ; 8-byte Folded Reload
	v_add_f64 v[24:25], v[24:25], v[26:27]
	v_add_f64 v[26:27], v[66:67], v[40:41]
	v_mul_f64 v[40:41], v[119:120], s[22:23]
	v_add_f64 v[42:43], v[179:180], v[42:43]
	v_mul_f64 v[66:67], v[153:154], s[10:11]
	v_add_f64 v[24:25], v[76:77], v[24:25]
	v_add_f64 v[26:27], v[78:79], v[26:27]
	v_add_f64 v[40:41], v[40:41], -v[171:172]
	scratch_load_b64 v[76:77], off, off offset:196 ; 8-byte Folded Reload
	v_add_f64 v[66:67], v[207:208], v[66:67]
	v_mul_f64 v[78:79], v[201:202], s[20:21]
	v_add_f64 v[24:25], v[84:85], v[24:25]
	v_add_f64 v[26:27], v[64:65], v[26:27]
	v_mul_f64 v[64:65], v[151:152], s[10:11]
	v_mul_f64 v[84:85], v[231:232], s[16:17]
	v_add_f64 v[78:79], v[78:79], -v[245:246]
	v_add_f64 v[24:25], v[42:43], v[24:25]
	v_add_f64 v[40:41], v[40:41], v[26:27]
	v_add_f64 v[64:65], v[64:65], -v[205:206]
	scratch_load_b64 v[42:43], off, off offset:396 ; 8-byte Folded Reload
	v_add_f64 v[84:85], v[137:138], v[84:85]
	v_add_f64 v[26:27], v[66:67], v[24:25]
	scratch_load_b64 v[66:67], off, off offset:204 ; 8-byte Folded Reload
	v_add_f64 v[24:25], v[64:65], v[40:41]
	scratch_load_b64 v[64:65], off, off offset:300 ; 8-byte Folded Reload
	v_mul_f64 v[40:41], v[177:178], s[22:23]
	s_waitcnt vmcnt(2)
	s_delay_alu instid0(VALU_DEP_1) | instskip(SKIP_2) | instid1(VALU_DEP_1)
	v_add_f64 v[40:41], v[42:43], v[40:41]
	v_mul_f64 v[42:43], v[149:150], s[18:19]
	s_waitcnt vmcnt(0)
	v_add_f64 v[42:43], v[64:65], v[42:43]
	v_mul_f64 v[64:65], v[111:112], s[14:15]
	s_delay_alu instid0(VALU_DEP_1) | instskip(SKIP_1) | instid1(VALU_DEP_2)
	v_add_f64 v[64:65], v[66:67], v[64:65]
	v_mul_f64 v[66:67], v[173:174], s[22:23]
	v_add_f64 v[52:53], v[64:65], v[52:53]
	s_delay_alu instid0(VALU_DEP_2) | instskip(SKIP_2) | instid1(VALU_DEP_4)
	v_add_f64 v[66:67], v[66:67], -v[72:73]
	v_mul_f64 v[72:73], v[145:146], s[18:19]
	v_mul_f64 v[64:65], v[229:230], s[16:17]
	v_add_f64 v[42:43], v[42:43], v[52:53]
	s_delay_alu instid0(VALU_DEP_3) | instskip(SKIP_1) | instid1(VALU_DEP_4)
	v_add_f64 v[72:73], v[72:73], -v[74:75]
	v_mul_f64 v[74:75], v[109:110], s[14:15]
	v_add_f64 v[64:65], v[64:65], -v[135:136]
	s_delay_alu instid0(VALU_DEP_4) | instskip(NEXT) | instid1(VALU_DEP_3)
	v_add_f64 v[40:41], v[40:41], v[42:43]
	v_add_f64 v[74:75], v[74:75], -v[76:77]
	v_mul_f64 v[76:77], v[203:204], s[20:21]
	s_delay_alu instid0(VALU_DEP_2) | instskip(NEXT) | instid1(VALU_DEP_2)
	v_add_f64 v[54:55], v[74:75], v[54:55]
	v_add_f64 v[76:77], v[247:248], v[76:77]
	scratch_load_b64 v[74:75], off, off offset:276 ; 8-byte Folded Reload
	v_add_f64 v[52:53], v[72:73], v[54:55]
	v_mul_f64 v[54:55], v[121:122], s[10:11]
	v_add_f64 v[40:41], v[76:77], v[40:41]
	s_clause 0x1
	scratch_load_b64 v[72:73], off, off offset:372
	scratch_load_b64 v[76:77], off, off offset:180
	v_add_f64 v[42:43], v[66:67], v[52:53]
	v_mul_f64 v[52:53], v[119:120], s[10:11]
	v_add_f64 v[54:55], v[169:170], v[54:55]
	v_mul_f64 v[66:67], v[153:154], s[0:1]
	;; [unrolled: 2-line block ×3, first 2 shown]
	v_add_f64 v[42:43], v[78:79], v[42:43]
	v_add_f64 v[52:53], v[52:53], -v[167:168]
	v_mul_f64 v[78:79], v[201:202], s[6:7]
	v_add_f64 v[66:67], v[185:186], v[66:67]
	v_add_f64 v[40:41], v[54:55], v[40:41]
	scratch_load_b64 v[54:55], off, off offset:380 ; 8-byte Folded Reload
	v_add_f64 v[84:85], v[133:134], v[84:85]
	v_add_f64 v[42:43], v[64:65], v[42:43]
	v_mul_f64 v[64:65], v[151:152], s[0:1]
	v_add_f64 v[78:79], v[78:79], -v[241:242]
	s_delay_alu instid0(VALU_DEP_3) | instskip(NEXT) | instid1(VALU_DEP_3)
	v_add_f64 v[52:53], v[52:53], v[42:43]
	v_add_f64 v[64:65], v[64:65], -v[183:184]
	v_add_f64 v[42:43], v[66:67], v[40:41]
	scratch_load_b64 v[66:67], off, off offset:188 ; 8-byte Folded Reload
	v_add_f64 v[40:41], v[64:65], v[52:53]
	scratch_load_b64 v[64:65], off, off offset:284 ; 8-byte Folded Reload
	v_mul_f64 v[52:53], v[177:178], s[16:17]
	s_waitcnt vmcnt(2)
	s_delay_alu instid0(VALU_DEP_1) | instskip(SKIP_2) | instid1(VALU_DEP_1)
	v_add_f64 v[52:53], v[54:55], v[52:53]
	v_mul_f64 v[54:55], v[149:150], s[22:23]
	s_waitcnt vmcnt(0)
	v_add_f64 v[54:55], v[64:65], v[54:55]
	v_mul_f64 v[64:65], v[111:112], s[18:19]
	s_delay_alu instid0(VALU_DEP_1) | instskip(SKIP_1) | instid1(VALU_DEP_2)
	v_add_f64 v[64:65], v[66:67], v[64:65]
	v_mul_f64 v[66:67], v[173:174], s[16:17]
	v_add_f64 v[44:45], v[64:65], v[44:45]
	s_delay_alu instid0(VALU_DEP_2) | instskip(SKIP_2) | instid1(VALU_DEP_4)
	v_add_f64 v[66:67], v[66:67], -v[72:73]
	v_mul_f64 v[72:73], v[145:146], s[22:23]
	v_mul_f64 v[64:65], v[229:230], s[0:1]
	v_add_f64 v[44:45], v[54:55], v[44:45]
	v_mul_f64 v[54:55], v[121:122], s[14:15]
	s_delay_alu instid0(VALU_DEP_4)
	v_add_f64 v[72:73], v[72:73], -v[74:75]
	v_mul_f64 v[74:75], v[109:110], s[18:19]
	v_add_f64 v[64:65], v[64:65], -v[131:132]
	v_add_f64 v[44:45], v[52:53], v[44:45]
	v_mul_f64 v[52:53], v[119:120], s[14:15]
	v_add_f64 v[54:55], v[165:166], v[54:55]
	v_add_f64 v[74:75], v[74:75], -v[76:77]
	v_mul_f64 v[76:77], v[203:204], s[6:7]
	s_delay_alu instid0(VALU_DEP_4) | instskip(NEXT) | instid1(VALU_DEP_3)
	v_add_f64 v[52:53], v[52:53], -v[163:164]
	v_add_f64 v[46:47], v[74:75], v[46:47]
	s_delay_alu instid0(VALU_DEP_3)
	v_add_f64 v[76:77], v[243:244], v[76:77]
	scratch_load_b64 v[74:75], off, off offset:260 ; 8-byte Folded Reload
	v_add_f64 v[46:47], v[72:73], v[46:47]
	v_add_f64 v[44:45], v[76:77], v[44:45]
	s_clause 0x1
	scratch_load_b64 v[72:73], off, off offset:356
	scratch_load_b64 v[76:77], off, off offset:164
	v_add_f64 v[46:47], v[66:67], v[46:47]
	v_mul_f64 v[66:67], v[153:154], s[20:21]
	v_add_f64 v[44:45], v[84:85], v[44:45]
	v_mul_f64 v[84:85], v[231:232], s[20:21]
	s_delay_alu instid0(VALU_DEP_4) | instskip(NEXT) | instid1(VALU_DEP_4)
	v_add_f64 v[46:47], v[78:79], v[46:47]
	v_add_f64 v[66:67], v[189:190], v[66:67]
	s_delay_alu instid0(VALU_DEP_4)
	v_add_f64 v[44:45], v[54:55], v[44:45]
	scratch_load_b64 v[54:55], off, off offset:364 ; 8-byte Folded Reload
	v_mul_f64 v[78:79], v[201:202], s[10:11]
	v_add_f64 v[84:85], v[129:130], v[84:85]
	v_add_f64 v[46:47], v[64:65], v[46:47]
	v_mul_f64 v[64:65], v[151:152], s[20:21]
	s_delay_alu instid0(VALU_DEP_4) | instskip(NEXT) | instid1(VALU_DEP_3)
	v_add_f64 v[78:79], v[78:79], -v[237:238]
	v_add_f64 v[52:53], v[52:53], v[46:47]
	s_delay_alu instid0(VALU_DEP_3)
	v_add_f64 v[64:65], v[64:65], -v[187:188]
	v_add_f64 v[46:47], v[66:67], v[44:45]
	scratch_load_b64 v[66:67], off, off offset:172 ; 8-byte Folded Reload
	v_add_f64 v[44:45], v[64:65], v[52:53]
	scratch_load_b64 v[64:65], off, off offset:268 ; 8-byte Folded Reload
	v_mul_f64 v[52:53], v[177:178], s[0:1]
	s_waitcnt vmcnt(2)
	s_delay_alu instid0(VALU_DEP_1) | instskip(SKIP_2) | instid1(VALU_DEP_1)
	v_add_f64 v[52:53], v[54:55], v[52:53]
	v_mul_f64 v[54:55], v[149:150], s[16:17]
	s_waitcnt vmcnt(0)
	v_add_f64 v[54:55], v[64:65], v[54:55]
	v_mul_f64 v[64:65], v[111:112], s[22:23]
	s_delay_alu instid0(VALU_DEP_1) | instskip(SKIP_1) | instid1(VALU_DEP_2)
	v_add_f64 v[64:65], v[66:67], v[64:65]
	v_mul_f64 v[66:67], v[173:174], s[0:1]
	v_add_f64 v[48:49], v[64:65], v[48:49]
	s_delay_alu instid0(VALU_DEP_2) | instskip(SKIP_2) | instid1(VALU_DEP_4)
	v_add_f64 v[66:67], v[66:67], -v[72:73]
	v_mul_f64 v[72:73], v[145:146], s[16:17]
	v_mul_f64 v[64:65], v[229:230], s[20:21]
	v_add_f64 v[48:49], v[54:55], v[48:49]
	v_mul_f64 v[54:55], v[121:122], s[18:19]
	s_delay_alu instid0(VALU_DEP_4)
	v_add_f64 v[72:73], v[72:73], -v[74:75]
	v_mul_f64 v[74:75], v[109:110], s[22:23]
	v_add_f64 v[64:65], v[64:65], -v[127:128]
	v_add_f64 v[48:49], v[52:53], v[48:49]
	v_mul_f64 v[52:53], v[119:120], s[18:19]
	v_add_f64 v[54:55], v[161:162], v[54:55]
	v_add_f64 v[74:75], v[74:75], -v[76:77]
	v_mul_f64 v[76:77], v[203:204], s[10:11]
	s_delay_alu instid0(VALU_DEP_4) | instskip(NEXT) | instid1(VALU_DEP_3)
	v_add_f64 v[52:53], v[52:53], -v[159:160]
	v_add_f64 v[50:51], v[74:75], v[50:51]
	s_delay_alu instid0(VALU_DEP_3)
	v_add_f64 v[76:77], v[239:240], v[76:77]
	scratch_load_b64 v[74:75], off, off offset:244 ; 8-byte Folded Reload
	v_add_f64 v[50:51], v[72:73], v[50:51]
	v_add_f64 v[48:49], v[76:77], v[48:49]
	s_clause 0x1
	scratch_load_b64 v[72:73], off, off offset:340
	scratch_load_b64 v[76:77], off, off offset:148
	v_add_f64 v[50:51], v[66:67], v[50:51]
	v_mul_f64 v[66:67], v[153:154], s[6:7]
	v_add_f64 v[48:49], v[84:85], v[48:49]
	v_mul_f64 v[84:85], v[231:232], s[14:15]
	s_delay_alu instid0(VALU_DEP_4) | instskip(NEXT) | instid1(VALU_DEP_4)
	v_add_f64 v[50:51], v[78:79], v[50:51]
	v_add_f64 v[66:67], v[193:194], v[66:67]
	s_delay_alu instid0(VALU_DEP_4)
	v_add_f64 v[48:49], v[54:55], v[48:49]
	scratch_load_b64 v[54:55], off, off offset:348 ; 8-byte Folded Reload
	v_mul_f64 v[78:79], v[201:202], s[22:23]
	v_add_f64 v[84:85], v[125:126], v[84:85]
	v_add_f64 v[50:51], v[64:65], v[50:51]
	v_mul_f64 v[64:65], v[151:152], s[6:7]
	s_delay_alu instid0(VALU_DEP_4) | instskip(NEXT) | instid1(VALU_DEP_3)
	v_add_f64 v[78:79], v[78:79], -v[233:234]
	v_add_f64 v[52:53], v[52:53], v[50:51]
	s_delay_alu instid0(VALU_DEP_3)
	v_add_f64 v[64:65], v[64:65], -v[191:192]
	v_add_f64 v[50:51], v[66:67], v[48:49]
	scratch_load_b64 v[66:67], off, off offset:156 ; 8-byte Folded Reload
	v_add_f64 v[48:49], v[64:65], v[52:53]
	scratch_load_b64 v[64:65], off, off offset:252 ; 8-byte Folded Reload
	v_mul_f64 v[52:53], v[177:178], s[10:11]
	s_waitcnt vmcnt(2)
	s_delay_alu instid0(VALU_DEP_1) | instskip(SKIP_2) | instid1(VALU_DEP_1)
	v_add_f64 v[52:53], v[54:55], v[52:53]
	v_mul_f64 v[54:55], v[149:150], s[6:7]
	s_waitcnt vmcnt(0)
	v_add_f64 v[54:55], v[64:65], v[54:55]
	v_mul_f64 v[64:65], v[111:112], s[20:21]
	s_delay_alu instid0(VALU_DEP_1) | instskip(SKIP_1) | instid1(VALU_DEP_2)
	v_add_f64 v[64:65], v[66:67], v[64:65]
	v_mul_f64 v[66:67], v[173:174], s[10:11]
	v_add_f64 v[64:65], v[64:65], v[68:69]
	s_delay_alu instid0(VALU_DEP_2) | instskip(SKIP_1) | instid1(VALU_DEP_3)
	v_add_f64 v[66:67], v[66:67], -v[72:73]
	v_mul_f64 v[72:73], v[145:146], s[6:7]
	v_add_f64 v[54:55], v[54:55], v[64:65]
	s_delay_alu instid0(VALU_DEP_2) | instskip(SKIP_1) | instid1(VALU_DEP_3)
	v_add_f64 v[72:73], v[72:73], -v[74:75]
	v_mul_f64 v[74:75], v[109:110], s[20:21]
	v_add_f64 v[52:53], v[52:53], v[54:55]
	s_delay_alu instid0(VALU_DEP_2) | instskip(SKIP_1) | instid1(VALU_DEP_2)
	v_add_f64 v[74:75], v[74:75], -v[76:77]
	v_mul_f64 v[76:77], v[203:204], s[22:23]
	v_add_f64 v[68:69], v[74:75], v[70:71]
	s_delay_alu instid0(VALU_DEP_2)
	v_add_f64 v[76:77], v[235:236], v[76:77]
	v_mul_f64 v[70:71], v[229:230], s[14:15]
	scratch_load_b64 v[74:75], off, off offset:228 ; 8-byte Folded Reload
	v_add_f64 v[64:65], v[72:73], v[68:69]
	v_mul_f64 v[68:69], v[121:122], s[0:1]
	v_add_f64 v[52:53], v[76:77], v[52:53]
	v_add_f64 v[70:71], v[70:71], -v[123:124]
	s_clause 0x1
	scratch_load_b64 v[72:73], off, off offset:132
	scratch_load_b64 v[76:77], off, off offset:324
	v_add_f64 v[54:55], v[66:67], v[64:65]
	v_add_f64 v[68:69], v[157:158], v[68:69]
	v_mul_f64 v[64:65], v[119:120], s[0:1]
	v_mul_f64 v[66:67], v[153:154], s[18:19]
	v_add_f64 v[52:53], v[84:85], v[52:53]
	v_mul_f64 v[84:85], v[231:232], s[18:19]
	v_add_f64 v[54:55], v[78:79], v[54:55]
	v_mul_f64 v[78:79], v[201:202], s[16:17]
	v_add_f64 v[64:65], v[64:65], -v[155:156]
	v_add_f64 v[66:67], v[197:198], v[66:67]
	v_add_f64 v[52:53], v[68:69], v[52:53]
	scratch_load_b64 v[68:69], off, off offset:236 ; 8-byte Folded Reload
	v_add_f64 v[84:85], v[117:118], v[84:85]
	v_add_f64 v[54:55], v[70:71], v[54:55]
	v_mul_f64 v[70:71], v[151:152], s[18:19]
	v_add_f64 v[78:79], v[78:79], -v[223:224]
	s_delay_alu instid0(VALU_DEP_3) | instskip(SKIP_3) | instid1(VALU_DEP_1)
	v_add_f64 v[64:65], v[64:65], v[54:55]
	v_add_f64 v[54:55], v[66:67], v[52:53]
	scratch_load_b64 v[66:67], off, off offset:332 ; 8-byte Folded Reload
	v_add_f64 v[70:71], v[70:71], -v[195:196]
	v_add_f64 v[52:53], v[70:71], v[64:65]
	scratch_load_b64 v[70:71], off, off offset:140 ; 8-byte Folded Reload
	v_mul_f64 v[64:65], v[177:178], s[14:15]
	s_waitcnt vmcnt(1)
	s_delay_alu instid0(VALU_DEP_1) | instskip(SKIP_1) | instid1(VALU_DEP_1)
	v_add_f64 v[64:65], v[66:67], v[64:65]
	v_mul_f64 v[66:67], v[149:150], s[10:11]
	v_add_f64 v[66:67], v[68:69], v[66:67]
	v_mul_f64 v[68:69], v[111:112], s[6:7]
	s_waitcnt vmcnt(0)
	s_delay_alu instid0(VALU_DEP_1) | instskip(SKIP_1) | instid1(VALU_DEP_2)
	v_add_f64 v[68:69], v[70:71], v[68:69]
	v_mul_f64 v[70:71], v[109:110], s[6:7]
	v_add_f64 v[60:61], v[68:69], v[60:61]
	s_delay_alu instid0(VALU_DEP_2) | instskip(SKIP_2) | instid1(VALU_DEP_4)
	v_add_f64 v[70:71], v[70:71], -v[72:73]
	v_mul_f64 v[72:73], v[145:146], s[10:11]
	v_mul_f64 v[68:69], v[229:230], s[18:19]
	v_add_f64 v[60:61], v[66:67], v[60:61]
	s_delay_alu instid0(VALU_DEP_4) | instskip(NEXT) | instid1(VALU_DEP_4)
	v_add_f64 v[62:63], v[70:71], v[62:63]
	v_add_f64 v[72:73], v[72:73], -v[74:75]
	v_mul_f64 v[74:75], v[173:174], s[14:15]
	v_add_f64 v[68:69], v[68:69], -v[251:252]
	v_mul_f64 v[66:67], v[121:122], s[20:21]
	v_mul_f64 v[70:71], v[153:154], s[22:23]
	v_add_f64 v[60:61], v[64:65], v[60:61]
	v_mul_f64 v[64:65], v[119:120], s[20:21]
	v_add_f64 v[62:63], v[72:73], v[62:63]
	v_add_f64 v[74:75], v[74:75], -v[76:77]
	v_mul_f64 v[76:77], v[203:204], s[16:17]
	v_add_f64 v[66:67], v[141:142], v[66:67]
	v_add_f64 v[70:71], v[181:182], v[70:71]
	v_add_f64 v[64:65], v[64:65], -v[139:140]
	v_add_f64 v[62:63], v[74:75], v[62:63]
	v_add_f64 v[76:77], v[225:226], v[76:77]
	s_delay_alu instid0(VALU_DEP_2) | instskip(NEXT) | instid1(VALU_DEP_2)
	v_add_f64 v[62:63], v[78:79], v[62:63]
	v_add_f64 v[60:61], v[76:77], v[60:61]
	s_delay_alu instid0(VALU_DEP_2) | instskip(NEXT) | instid1(VALU_DEP_2)
	v_add_f64 v[62:63], v[68:69], v[62:63]
	v_add_f64 v[60:61], v[84:85], v[60:61]
	v_mul_f64 v[68:69], v[151:152], s[22:23]
	s_delay_alu instid0(VALU_DEP_3) | instskip(NEXT) | instid1(VALU_DEP_3)
	v_add_f64 v[64:65], v[64:65], v[62:63]
	v_add_f64 v[60:61], v[66:67], v[60:61]
	s_delay_alu instid0(VALU_DEP_3) | instskip(NEXT) | instid1(VALU_DEP_2)
	v_add_f64 v[68:69], v[68:69], -v[175:176]
	v_add_f64 v[62:63], v[70:71], v[60:61]
	s_delay_alu instid0(VALU_DEP_2) | instskip(SKIP_1) | instid1(VALU_DEP_1)
	v_add_f64 v[60:61], v[68:69], v[64:65]
	v_and_b32_e32 v64, 0xffff, v199
	v_add_lshl_u32 v64, v211, v64, 4
	ds_store_b128 v64, v[40:43] offset:32
	ds_store_b128 v64, v[44:47] offset:48
	;; [unrolled: 1-line block ×6, first 2 shown]
	ds_store_b128 v64, v[36:39]
	ds_store_b128 v64, v[56:59] offset:128
	ds_store_b128 v64, v[80:83] offset:144
	ds_store_b128 v64, v[32:35] offset:160
	ds_store_b128 v64, v[20:23] offset:176
	ds_store_b128 v64, v[16:19] offset:192
	ds_store_b128 v64, v[12:15] offset:208
	ds_store_b128 v64, v[8:11] offset:224
	ds_store_b128 v64, v[4:7] offset:240
	ds_store_b128 v64, v[28:31] offset:112
	ds_store_b128 v64, v[0:3] offset:256
.LBB0_7:
	s_or_b32 exec_lo, exec_lo, s24
	v_mul_u32_u24_e32 v24, 6, v255
	s_load_b128 s[0:3], s[2:3], 0x0
	s_waitcnt lgkmcnt(0)
	s_barrier
	buffer_gl0_inv
	v_lshlrev_b32_e32 v24, 4, v24
	v_add_lshl_u32 v209, v211, v255, 4
	s_mov_b32 s6, 0x36b3c0b5
	s_mov_b32 s10, 0xe976ee23
	;; [unrolled: 1-line block ×3, first 2 shown]
	s_clause 0x5
	global_load_b128 v[40:43], v24, s[4:5]
	global_load_b128 v[169:172], v24, s[4:5] offset:16
	global_load_b128 v[44:47], v24, s[4:5] offset:80
	;; [unrolled: 1-line block ×5, first 2 shown]
	ds_load_b128 v[60:63], v209 offset:272
	ds_load_b128 v[64:67], v209 offset:544
	;; [unrolled: 1-line block ×6, first 2 shown]
	scratch_load_b32 v24, off, off          ; 4-byte Folded Reload
	s_mov_b32 s4, 0x37e14327
	s_mov_b32 s5, 0x3fe948f6
	;; [unrolled: 1-line block ×7, first 2 shown]
	s_waitcnt vmcnt(6) lgkmcnt(5)
	v_mul_f64 v[88:89], v[62:63], v[42:43]
	v_mul_f64 v[90:91], v[60:61], v[42:43]
	s_waitcnt vmcnt(5) lgkmcnt(4)
	v_mul_f64 v[92:93], v[66:67], v[171:172]
	v_mul_f64 v[94:95], v[64:65], v[171:172]
	;; [unrolled: 3-line block ×6, first 2 shown]
	s_waitcnt vmcnt(0)
	v_lshl_add_u32 v104, v255, 4, v24
	v_fma_f64 v[60:61], v[60:61], v[40:41], -v[88:89]
	v_fma_f64 v[62:63], v[62:63], v[40:41], v[90:91]
	v_fma_f64 v[64:65], v[64:65], v[169:170], -v[92:93]
	v_fma_f64 v[66:67], v[66:67], v[169:170], v[94:95]
	;; [unrolled: 2-line block ×6, first 2 shown]
	v_add_f64 v[88:89], v[60:61], v[68:69]
	v_add_f64 v[90:91], v[62:63], v[70:71]
	v_add_f64 v[92:93], v[64:65], v[72:73]
	v_add_f64 v[94:95], v[66:67], v[74:75]
	v_add_f64 v[64:65], v[64:65], -v[72:73]
	v_add_f64 v[66:67], v[66:67], -v[74:75]
	v_add_f64 v[96:97], v[76:77], v[84:85]
	v_add_f64 v[98:99], v[78:79], v[86:87]
	v_add_f64 v[72:73], v[84:85], -v[76:77]
	v_add_f64 v[74:75], v[86:87], -v[78:79]
	;; [unrolled: 1-line block ×4, first 2 shown]
	v_add_f64 v[60:61], v[92:93], v[88:89]
	v_add_f64 v[62:63], v[94:95], v[90:91]
	v_add_f64 v[76:77], v[88:89], -v[96:97]
	v_add_f64 v[78:79], v[90:91], -v[98:99]
	;; [unrolled: 1-line block ×10, first 2 shown]
	v_add_f64 v[64:65], v[72:73], v[64:65]
	v_add_f64 v[66:67], v[74:75], v[66:67]
	v_add_f64 v[72:73], v[68:69], -v[72:73]
	v_add_f64 v[74:75], v[70:71], -v[74:75]
	v_add_f64 v[96:97], v[96:97], v[60:61]
	v_add_f64 v[98:99], v[98:99], v[62:63]
	ds_load_b128 v[60:63], v209
	v_mul_f64 v[76:77], v[76:77], s[4:5]
	v_mul_f64 v[78:79], v[78:79], s[4:5]
	s_mov_b32 s4, 0x429ad128
	v_mul_f64 v[92:93], v[84:85], s[6:7]
	v_mul_f64 v[94:95], v[86:87], s[6:7]
	;; [unrolled: 1-line block ×4, first 2 shown]
	s_mov_b32 s5, 0x3febfeb5
	s_mov_b32 s10, 0xaaaaaaaa
	v_mul_f64 v[111:112], v[106:107], s[4:5]
	v_mul_f64 v[113:114], v[109:110], s[4:5]
	s_mov_b32 s11, 0xbff2aaaa
	v_add_f64 v[64:65], v[64:65], v[68:69]
	v_add_f64 v[66:67], v[66:67], v[70:71]
	s_waitcnt lgkmcnt(0)
	v_add_f64 v[60:61], v[60:61], v[96:97]
	v_add_f64 v[62:63], v[62:63], v[98:99]
	v_fma_f64 v[68:69], v[84:85], s[6:7], v[76:77]
	v_fma_f64 v[70:71], v[86:87], s[6:7], v[78:79]
	v_fma_f64 v[84:85], v[88:89], s[14:15], -v[92:93]
	v_fma_f64 v[86:87], v[90:91], s[14:15], -v[94:95]
	s_mov_b32 s15, 0xbfe77f67
	v_fma_f64 v[92:93], v[72:73], s[16:17], v[100:101]
	v_fma_f64 v[94:95], v[74:75], s[16:17], v[102:103]
	s_mov_b32 s17, 0xbfd5d0dc
	v_fma_f64 v[100:101], v[106:107], s[4:5], -v[100:101]
	v_fma_f64 v[102:103], v[109:110], s[4:5], -v[102:103]
	;; [unrolled: 1-line block ×6, first 2 shown]
	s_mov_b32 s4, 0x37c3f68c
	s_mov_b32 s5, 0x3fdc38aa
	v_fma_f64 v[96:97], v[96:97], s[10:11], v[60:61]
	v_fma_f64 v[98:99], v[98:99], s[10:11], v[62:63]
	;; [unrolled: 1-line block ×8, first 2 shown]
	v_add_f64 v[106:107], v[68:69], v[96:97]
	v_add_f64 v[109:110], v[70:71], v[98:99]
	;; [unrolled: 1-line block ×7, first 2 shown]
	v_add_f64 v[66:67], v[109:110], -v[90:91]
	v_add_f64 v[68:69], v[102:103], v[111:112]
	v_add_f64 v[70:71], v[113:114], -v[100:101]
	v_add_f64 v[72:73], v[76:77], -v[94:95]
	v_add_f64 v[74:75], v[92:93], v[78:79]
	v_add_f64 v[76:77], v[94:95], v[76:77]
	v_add_f64 v[78:79], v[78:79], -v[92:93]
	v_add_f64 v[84:85], v[111:112], -v[102:103]
	v_add_f64 v[86:87], v[100:101], v[113:114]
	v_add_f64 v[88:89], v[106:107], -v[88:89]
	v_add_f64 v[90:91], v[90:91], v[109:110]
	ds_store_b128 v104, v[60:63]
	ds_store_b128 v104, v[64:67] offset:272
	ds_store_b128 v104, v[68:71] offset:544
	;; [unrolled: 1-line block ×6, first 2 shown]
	s_waitcnt lgkmcnt(0)
	s_barrier
	buffer_gl0_inv
	s_and_saveexec_b32 s6, vcc_lo
	s_cbranch_execz .LBB0_9
; %bb.8:
	global_load_b128 v[92:95], v220, s[8:9] offset:1904
	s_add_u32 s4, s8, 0x770
	s_addc_u32 s5, s9, 0
	s_clause 0x3
	global_load_b128 v[96:99], v220, s[4:5] offset:112
	global_load_b128 v[100:103], v220, s[4:5] offset:224
	;; [unrolled: 1-line block ×4, first 2 shown]
	ds_load_b128 v[117:120], v104
	ds_load_b128 v[121:124], v104 offset:112
	ds_load_b128 v[125:128], v104 offset:224
	global_load_b128 v[129:132], v220, s[4:5] offset:560
	s_waitcnt vmcnt(5) lgkmcnt(2)
	v_mul_f64 v[106:107], v[119:120], v[94:95]
	v_mul_f64 v[94:95], v[117:118], v[94:95]
	s_waitcnt vmcnt(4) lgkmcnt(1)
	v_mul_f64 v[133:134], v[123:124], v[98:99]
	v_mul_f64 v[98:99], v[121:122], v[98:99]
	s_delay_alu instid0(VALU_DEP_4) | instskip(NEXT) | instid1(VALU_DEP_4)
	v_fma_f64 v[117:118], v[117:118], v[92:93], -v[106:107]
	v_fma_f64 v[119:120], v[119:120], v[92:93], v[94:95]
	ds_load_b128 v[92:95], v104 offset:336
	v_fma_f64 v[121:122], v[121:122], v[96:97], -v[133:134]
	v_fma_f64 v[123:124], v[123:124], v[96:97], v[98:99]
	s_waitcnt vmcnt(3) lgkmcnt(1)
	v_mul_f64 v[96:97], v[127:128], v[102:103]
	v_mul_f64 v[98:99], v[125:126], v[102:103]
	s_waitcnt vmcnt(2) lgkmcnt(0)
	v_mul_f64 v[106:107], v[94:95], v[111:112]
	v_mul_f64 v[111:112], v[92:93], v[111:112]
	s_delay_alu instid0(VALU_DEP_4) | instskip(NEXT) | instid1(VALU_DEP_4)
	v_fma_f64 v[96:97], v[125:126], v[100:101], -v[96:97]
	v_fma_f64 v[98:99], v[127:128], v[100:101], v[98:99]
	ds_load_b128 v[100:103], v104 offset:448
	ds_load_b128 v[125:128], v104 offset:560
	v_fma_f64 v[92:93], v[92:93], v[109:110], -v[106:107]
	v_fma_f64 v[94:95], v[94:95], v[109:110], v[111:112]
	global_load_b128 v[109:112], v220, s[4:5] offset:672
	s_waitcnt vmcnt(2) lgkmcnt(1)
	v_mul_f64 v[106:107], v[102:103], v[115:116]
	v_mul_f64 v[115:116], v[100:101], v[115:116]
	s_delay_alu instid0(VALU_DEP_2) | instskip(NEXT) | instid1(VALU_DEP_2)
	v_fma_f64 v[100:101], v[100:101], v[113:114], -v[106:107]
	v_fma_f64 v[102:103], v[102:103], v[113:114], v[115:116]
	global_load_b128 v[113:116], v220, s[4:5] offset:784
	s_waitcnt vmcnt(2) lgkmcnt(0)
	v_mul_f64 v[106:107], v[127:128], v[131:132]
	v_mul_f64 v[131:132], v[125:126], v[131:132]
	s_delay_alu instid0(VALU_DEP_2) | instskip(NEXT) | instid1(VALU_DEP_2)
	v_fma_f64 v[125:126], v[125:126], v[129:130], -v[106:107]
	v_fma_f64 v[127:128], v[127:128], v[129:130], v[131:132]
	ds_load_b128 v[129:132], v104 offset:672
	ds_load_b128 v[133:136], v104 offset:784
	s_waitcnt vmcnt(1) lgkmcnt(1)
	v_mul_f64 v[106:107], v[131:132], v[111:112]
	v_mul_f64 v[111:112], v[129:130], v[111:112]
	s_delay_alu instid0(VALU_DEP_2) | instskip(NEXT) | instid1(VALU_DEP_2)
	v_fma_f64 v[129:130], v[129:130], v[109:110], -v[106:107]
	v_fma_f64 v[131:132], v[131:132], v[109:110], v[111:112]
	s_waitcnt vmcnt(0) lgkmcnt(0)
	v_mul_f64 v[106:107], v[135:136], v[115:116]
	v_mul_f64 v[111:112], v[133:134], v[115:116]
	s_delay_alu instid0(VALU_DEP_2) | instskip(NEXT) | instid1(VALU_DEP_2)
	v_fma_f64 v[109:110], v[133:134], v[113:114], -v[106:107]
	v_fma_f64 v[111:112], v[135:136], v[113:114], v[111:112]
	s_clause 0x1
	global_load_b128 v[113:116], v220, s[4:5] offset:896
	global_load_b128 v[133:136], v220, s[4:5] offset:1008
	ds_load_b128 v[137:140], v104 offset:896
	ds_load_b128 v[141:144], v104 offset:1008
	s_waitcnt vmcnt(1) lgkmcnt(1)
	v_mul_f64 v[106:107], v[139:140], v[115:116]
	v_mul_f64 v[115:116], v[137:138], v[115:116]
	s_delay_alu instid0(VALU_DEP_2) | instskip(NEXT) | instid1(VALU_DEP_2)
	v_fma_f64 v[137:138], v[137:138], v[113:114], -v[106:107]
	v_fma_f64 v[139:140], v[139:140], v[113:114], v[115:116]
	s_waitcnt vmcnt(0) lgkmcnt(0)
	v_mul_f64 v[106:107], v[143:144], v[135:136]
	v_mul_f64 v[115:116], v[141:142], v[135:136]
	s_delay_alu instid0(VALU_DEP_2) | instskip(NEXT) | instid1(VALU_DEP_2)
	v_fma_f64 v[113:114], v[141:142], v[133:134], -v[106:107]
	v_fma_f64 v[115:116], v[143:144], v[133:134], v[115:116]
	s_clause 0x1
	global_load_b128 v[133:136], v220, s[4:5] offset:1120
	global_load_b128 v[141:144], v220, s[4:5] offset:1232
	;; [unrolled: 17-line block ×4, first 2 shown]
	ds_load_b128 v[161:164], v104 offset:1568
	ds_load_b128 v[165:168], v104 offset:1680
	s_waitcnt vmcnt(1) lgkmcnt(1)
	v_mul_f64 v[106:107], v[163:164], v[151:152]
	v_mul_f64 v[151:152], v[161:162], v[151:152]
	s_delay_alu instid0(VALU_DEP_2) | instskip(NEXT) | instid1(VALU_DEP_2)
	v_fma_f64 v[161:162], v[161:162], v[149:150], -v[106:107]
	v_fma_f64 v[163:164], v[163:164], v[149:150], v[151:152]
	s_waitcnt vmcnt(0) lgkmcnt(0)
	v_mul_f64 v[106:107], v[167:168], v[159:160]
	v_mul_f64 v[151:152], v[165:166], v[159:160]
	s_delay_alu instid0(VALU_DEP_2) | instskip(NEXT) | instid1(VALU_DEP_2)
	v_fma_f64 v[149:150], v[165:166], v[157:158], -v[106:107]
	v_fma_f64 v[151:152], v[167:168], v[157:158], v[151:152]
	global_load_b128 v[157:160], v220, s[4:5] offset:1792
	ds_load_b128 v[165:168], v104 offset:1792
	s_waitcnt vmcnt(0) lgkmcnt(0)
	v_mul_f64 v[106:107], v[167:168], v[159:160]
	v_mul_f64 v[159:160], v[165:166], v[159:160]
	s_delay_alu instid0(VALU_DEP_2) | instskip(NEXT) | instid1(VALU_DEP_2)
	v_fma_f64 v[165:166], v[165:166], v[157:158], -v[106:107]
	v_fma_f64 v[167:168], v[167:168], v[157:158], v[159:160]
	ds_store_b128 v104, v[117:120]
	ds_store_b128 v104, v[121:124] offset:112
	ds_store_b128 v104, v[96:99] offset:224
	;; [unrolled: 1-line block ×16, first 2 shown]
.LBB0_9:
	s_or_b32 exec_lo, exec_lo, s6
	scratch_store_b32 off, v255, off offset:4 ; 4-byte Folded Spill
	s_waitcnt lgkmcnt(0)
	s_waitcnt_vscnt null, 0x0
	s_barrier
	buffer_gl0_inv
	s_and_saveexec_b32 s4, vcc_lo
	s_cbranch_execz .LBB0_11
; %bb.10:
	ds_load_b128 v[60:63], v104
	ds_load_b128 v[64:67], v104 offset:112
	ds_load_b128 v[68:71], v104 offset:224
	;; [unrolled: 1-line block ×16, first 2 shown]
.LBB0_11:
	s_or_b32 exec_lo, exec_lo, s4
	s_waitcnt lgkmcnt(0)
	s_barrier
	buffer_gl0_inv
	s_and_saveexec_b32 s33, vcc_lo
	s_cbranch_execz .LBB0_13
; %bb.12:
	v_add_f64 v[94:95], v[64:65], v[60:61]
	v_add_f64 v[92:93], v[66:67], v[62:63]
	v_add_f64 v[96:97], v[58:59], -v[82:83]
	v_add_f64 v[102:103], v[68:69], -v[4:5]
	s_mov_b32 s24, 0x6c9a05f6
	s_mov_b32 s25, 0xbfe9895b
	;; [unrolled: 1-line block ×34, first 2 shown]
	v_add_f64 v[94:95], v[68:69], v[94:95]
	v_add_f64 v[92:93], v[70:71], v[92:93]
	;; [unrolled: 1-line block ×3, first 2 shown]
	s_mov_b32 s6, 0x910ea3b9
	s_mov_b32 s4, 0x7faef3
	;; [unrolled: 1-line block ×6, first 2 shown]
	v_dual_mov_b32 v36, v169 :: v_dual_mov_b32 v37, v170
	v_dual_mov_b32 v38, v171 :: v_dual_mov_b32 v39, v172
	v_mul_f64 v[179:180], v[96:97], s[26:27]
	s_mov_b32 s51, 0x3fe9895b
	s_mov_b32 s50, s24
	;; [unrolled: 1-line block ×4, first 2 shown]
	v_dual_mov_b32 v48, v181 :: v_dual_mov_b32 v49, v182
	v_dual_mov_b32 v50, v183 :: v_dual_mov_b32 v51, v184
	v_mul_f64 v[181:182], v[96:97], s[44:45]
	v_mul_f64 v[212:213], v[96:97], s[30:31]
	;; [unrolled: 1-line block ×3, first 2 shown]
	v_dual_mov_b32 v108, v220 :: v_dual_mov_b32 v105, v253
	v_mul_f64 v[240:241], v[96:97], s[40:41]
	v_mul_f64 v[242:243], v[102:103], s[24:25]
	v_mov_b32_e32 v255, v199
	v_add_f64 v[94:95], v[72:73], v[94:95]
	v_add_f64 v[92:93], v[74:75], v[92:93]
	s_delay_alu instid0(VALU_DEP_2) | instskip(NEXT) | instid1(VALU_DEP_2)
	v_add_f64 v[94:95], v[76:77], v[94:95]
	v_add_f64 v[92:93], v[78:79], v[92:93]
	s_delay_alu instid0(VALU_DEP_2) | instskip(NEXT) | instid1(VALU_DEP_2)
	;; [unrolled: 3-line block ×5, first 2 shown]
	v_add_f64 v[100:101], v[94:95], v[56:57]
	v_add_f64 v[98:99], v[92:93], v[58:59]
	;; [unrolled: 1-line block ×4, first 2 shown]
	v_add_f64 v[94:95], v[56:57], -v[80:81]
	v_add_f64 v[56:57], v[56:57], v[80:81]
	v_add_f64 v[100:101], v[100:101], v[80:81]
	;; [unrolled: 1-line block ×3, first 2 shown]
	v_add_f64 v[82:83], v[30:31], -v[34:35]
	v_add_f64 v[80:81], v[28:29], -v[32:33]
	v_add_f64 v[28:29], v[28:29], v[32:33]
	v_add_f64 v[30:31], v[88:89], v[20:21]
	v_mul_f64 v[177:178], v[94:95], s[26:27]
	v_mul_f64 v[26:27], v[94:95], s[30:31]
	;; [unrolled: 1-line block ×5, first 2 shown]
	v_add_f64 v[100:101], v[100:101], v[32:33]
	v_add_f64 v[34:35], v[98:99], v[34:35]
	v_add_f64 v[98:99], v[88:89], -v[20:21]
	v_add_f64 v[32:33], v[90:91], v[22:23]
	v_add_f64 v[88:89], v[90:91], -v[22:23]
	v_add_f64 v[90:91], v[84:85], -v[16:17]
	v_mul_f64 v[234:235], v[80:81], s[44:45]
	v_mul_f64 v[236:237], v[82:83], s[44:45]
	;; [unrolled: 1-line block ×7, first 2 shown]
	v_add_f64 v[100:101], v[100:101], v[20:21]
	v_add_f64 v[34:35], v[34:35], v[22:23]
	;; [unrolled: 1-line block ×4, first 2 shown]
	v_add_f64 v[84:85], v[86:87], -v[18:19]
	v_add_f64 v[86:87], v[76:77], -v[12:13]
	v_mul_f64 v[230:231], v[98:99], s[52:53]
	v_mul_f64 v[232:233], v[88:89], s[52:53]
	;; [unrolled: 1-line block ×5, first 2 shown]
	v_add_f64 v[100:101], v[100:101], v[16:17]
	v_add_f64 v[34:35], v[34:35], v[18:19]
	;; [unrolled: 1-line block ×4, first 2 shown]
	v_add_f64 v[78:79], v[78:79], -v[14:15]
	v_add_f64 v[76:77], v[74:75], v[10:11]
	v_mul_f64 v[222:223], v[86:87], s[30:31]
	v_mul_f64 v[248:249], v[86:87], s[52:53]
	;; [unrolled: 1-line block ×4, first 2 shown]
	v_add_f64 v[12:13], v[100:101], v[12:13]
	v_add_f64 v[14:15], v[34:35], v[14:15]
	v_add_f64 v[100:101], v[72:73], -v[8:9]
	v_add_f64 v[34:35], v[72:73], v[8:9]
	v_add_f64 v[72:73], v[74:75], -v[10:11]
	v_add_f64 v[74:75], v[70:71], -v[6:7]
	v_add_f64 v[70:71], v[70:71], v[6:7]
	v_mul_f64 v[224:225], v[78:79], s[30:31]
	v_mul_f64 v[250:251], v[78:79], s[52:53]
	;; [unrolled: 1-line block ×4, first 2 shown]
	v_add_f64 v[8:9], v[12:13], v[8:9]
	v_add_f64 v[10:11], v[14:15], v[10:11]
	;; [unrolled: 1-line block ×4, first 2 shown]
	v_mul_f64 v[163:164], v[72:73], s[36:37]
	v_mul_f64 v[216:217], v[74:75], s[42:43]
	v_mul_f64 v[218:219], v[100:101], s[24:25]
	v_mul_f64 v[220:221], v[72:73], s[24:25]
	v_mul_f64 v[54:55], v[74:75], s[30:31]
	v_mul_f64 v[165:166], v[72:73], s[34:35]
	v_add_f64 v[4:5], v[8:9], v[4:5]
	v_add_f64 v[8:9], v[64:65], -v[0:1]
	v_add_f64 v[6:7], v[10:11], v[6:7]
	v_add_f64 v[10:11], v[66:67], -v[2:3]
	s_delay_alu instid0(VALU_DEP_4) | instskip(NEXT) | instid1(VALU_DEP_4)
	v_add_f64 v[0:1], v[4:5], v[0:1]
	v_mul_f64 v[64:65], v[8:9], s[24:25]
	s_delay_alu instid0(VALU_DEP_4) | instskip(NEXT) | instid1(VALU_DEP_4)
	v_add_f64 v[2:3], v[6:7], v[2:3]
	v_mul_f64 v[131:132], v[10:11], s[24:25]
	v_mul_f64 v[66:67], v[8:9], s[46:47]
	;; [unrolled: 1-line block ×13, first 2 shown]
	v_fma_f64 v[117:118], v[12:13], s[10:11], v[64:65]
	v_fma_f64 v[64:65], v[12:13], s[10:11], -v[64:65]
	scratch_store_b128 off, v[0:3], off offset:12 ; 16-byte Folded Spill
	v_fma_f64 v[145:146], v[14:15], s[10:11], -v[131:132]
	v_fma_f64 v[131:132], v[14:15], s[10:11], v[131:132]
	v_fma_f64 v[119:120], v[12:13], s[14:15], v[66:67]
	v_fma_f64 v[147:148], v[14:15], s[14:15], -v[133:134]
	v_fma_f64 v[121:122], v[12:13], s[16:17], v[106:107]
	v_fma_f64 v[149:150], v[14:15], s[16:17], -v[135:136]
	v_fma_f64 v[123:124], v[12:13], s[18:19], -v[109:110]
	v_fma_f64 v[109:110], v[12:13], s[18:19], v[109:110]
	v_fma_f64 v[151:152], v[14:15], s[18:19], v[137:138]
	v_fma_f64 v[137:138], v[14:15], s[18:19], -v[137:138]
	v_fma_f64 v[125:126], v[12:13], s[20:21], -v[111:112]
	v_fma_f64 v[111:112], v[12:13], s[20:21], v[111:112]
	v_fma_f64 v[153:154], v[14:15], s[20:21], v[139:140]
	v_fma_f64 v[139:140], v[14:15], s[20:21], -v[139:140]
	v_fma_f64 v[113:114], v[12:13], s[4:5], v[4:5]
	v_fma_f64 v[4:5], v[12:13], s[4:5], -v[4:5]
	;; [unrolled: 2-line block ×3, first 2 shown]
	v_fma_f64 v[66:67], v[12:13], s[14:15], -v[66:67]
	v_fma_f64 v[106:107], v[12:13], s[16:17], -v[106:107]
	v_fma_f64 v[127:128], v[12:13], s[22:23], -v[8:9]
	v_fma_f64 v[8:9], v[12:13], s[22:23], v[8:9]
	v_mul_f64 v[12:13], v[10:11], s[30:31]
	v_mul_f64 v[10:11], v[10:11], s[28:29]
	v_fma_f64 v[143:144], v[14:15], s[6:7], -v[129:130]
	v_fma_f64 v[129:130], v[14:15], s[6:7], v[129:130]
	v_fma_f64 v[133:134], v[14:15], s[14:15], v[133:134]
	;; [unrolled: 1-line block ×3, first 2 shown]
	v_add_f64 v[117:118], v[62:63], v[117:118]
	v_add_f64 v[0:1], v[62:63], v[64:65]
	;; [unrolled: 1-line block ×7, first 2 shown]
	v_fma_f64 v[141:142], v[14:15], s[4:5], -v[12:13]
	v_fma_f64 v[12:13], v[14:15], s[4:5], v[12:13]
	v_fma_f64 v[155:156], v[14:15], s[22:23], v[10:11]
	v_fma_f64 v[10:11], v[14:15], s[22:23], -v[10:11]
	v_add_f64 v[14:15], v[62:63], v[113:114]
	v_add_f64 v[143:144], v[60:61], v[143:144]
	;; [unrolled: 1-line block ×4, first 2 shown]
	v_mul_f64 v[133:134], v[80:81], s[38:39]
	scratch_store_b64 off, v[0:1], off offset:164 ; 8-byte Folded Spill
	v_add_f64 v[0:1], v[60:61], v[131:132]
	v_add_f64 v[131:132], v[60:61], v[135:136]
	;; [unrolled: 1-line block ×7, first 2 shown]
	scratch_store_b64 off, v[0:1], off offset:156 ; 8-byte Folded Spill
	v_add_f64 v[0:1], v[62:63], v[119:120]
	v_add_f64 v[119:120], v[62:63], v[127:128]
	;; [unrolled: 1-line block ×3, first 2 shown]
	v_mul_f64 v[151:152], v[98:99], s[38:39]
	scratch_store_b64 off, v[0:1], off offset:148 ; 8-byte Folded Spill
	v_add_f64 v[0:1], v[60:61], v[147:148]
	v_mul_f64 v[147:148], v[78:79], s[42:43]
	scratch_store_b64 off, v[0:1], off offset:140 ; 8-byte Folded Spill
	v_add_f64 v[0:1], v[62:63], v[121:122]
	v_add_f64 v[121:122], v[62:63], v[125:126]
	;; [unrolled: 1-line block ×3, first 2 shown]
	scratch_store_b64 off, v[0:1], off offset:132 ; 8-byte Folded Spill
	v_add_f64 v[0:1], v[60:61], v[149:150]
	v_mul_f64 v[149:150], v[86:87], s[42:43]
	scratch_store_b64 off, v[0:1], off offset:124 ; 8-byte Folded Spill
	v_add_f64 v[0:1], v[62:63], v[109:110]
	scratch_store_b64 off, v[0:1], off offset:116 ; 8-byte Folded Spill
	v_add_f64 v[0:1], v[60:61], v[137:138]
	v_mul_f64 v[137:138], v[90:91], s[46:47]
	scratch_store_b64 off, v[0:1], off offset:108 ; 8-byte Folded Spill
	v_add_f64 v[0:1], v[62:63], v[111:112]
	scratch_store_b64 off, v[0:1], off offset:84 ; 8-byte Folded Spill
	v_add_f64 v[0:1], v[60:61], v[139:140]
	;; [unrolled: 2-line block ×3, first 2 shown]
	v_mul_f64 v[8:9], v[102:103], s[40:41]
	scratch_store_b64 off, v[0:1], off offset:68 ; 8-byte Folded Spill
	v_fma_f64 v[4:5], v[70:71], s[22:23], v[8:9]
	v_add_f64 v[0:1], v[60:61], v[10:11]
	v_mul_f64 v[10:11], v[74:75], s[40:41]
	v_fma_f64 v[8:9], v[70:71], s[22:23], -v[8:9]
	v_mul_f64 v[60:61], v[82:83], s[38:39]
	v_add_f64 v[4:5], v[4:5], v[14:15]
	v_mul_f64 v[14:15], v[100:101], s[38:39]
	v_fma_f64 v[6:7], v[68:69], s[22:23], -v[10:11]
	v_fma_f64 v[10:11], v[68:69], s[22:23], v[10:11]
	v_add_f64 v[8:9], v[8:9], v[141:142]
	scratch_store_b64 off, v[0:1], off offset:60 ; 8-byte Folded Spill
	v_fma_f64 v[109:110], v[76:77], s[6:7], v[14:15]
	v_add_f64 v[6:7], v[6:7], v[113:114]
	v_add_f64 v[10:11], v[10:11], v[12:13]
	v_fma_f64 v[12:13], v[76:77], s[6:7], -v[14:15]
	v_fma_f64 v[14:15], v[56:57], s[16:17], v[179:180]
	v_add_f64 v[4:5], v[109:110], v[4:5]
	v_mul_f64 v[109:110], v[72:73], s[38:39]
	s_delay_alu instid0(VALU_DEP_4) | instskip(NEXT) | instid1(VALU_DEP_2)
	v_add_f64 v[8:9], v[12:13], v[8:9]
	v_fma_f64 v[111:112], v[34:35], s[6:7], -v[109:110]
	v_fma_f64 v[12:13], v[34:35], s[6:7], v[109:110]
	v_mul_f64 v[109:110], v[102:103], s[44:45]
	s_delay_alu instid0(VALU_DEP_3) | instskip(SKIP_1) | instid1(VALU_DEP_4)
	v_add_f64 v[6:7], v[111:112], v[6:7]
	v_mul_f64 v[111:112], v[86:87], s[34:35]
	v_add_f64 v[10:11], v[12:13], v[10:11]
	s_delay_alu instid0(VALU_DEP_2) | instskip(SKIP_2) | instid1(VALU_DEP_3)
	v_fma_f64 v[113:114], v[18:19], s[20:21], v[111:112]
	v_fma_f64 v[12:13], v[18:19], s[20:21], -v[111:112]
	v_mul_f64 v[111:112], v[74:75], s[44:45]
	v_add_f64 v[4:5], v[113:114], v[4:5]
	v_mul_f64 v[113:114], v[78:79], s[34:35]
	s_delay_alu instid0(VALU_DEP_4) | instskip(NEXT) | instid1(VALU_DEP_2)
	v_add_f64 v[8:9], v[12:13], v[8:9]
	v_fma_f64 v[139:140], v[16:17], s[20:21], -v[113:114]
	v_fma_f64 v[12:13], v[16:17], s[20:21], v[113:114]
	v_mul_f64 v[113:114], v[100:101], s[42:43]
	s_delay_alu instid0(VALU_DEP_3) | instskip(SKIP_1) | instid1(VALU_DEP_4)
	v_add_f64 v[6:7], v[139:140], v[6:7]
	v_mul_f64 v[139:140], v[90:91], s[24:25]
	v_add_f64 v[10:11], v[12:13], v[10:11]
	s_delay_alu instid0(VALU_DEP_2) | instskip(SKIP_1) | instid1(VALU_DEP_2)
	v_fma_f64 v[153:154], v[22:23], s[10:11], v[139:140]
	v_fma_f64 v[12:13], v[22:23], s[10:11], -v[139:140]
	v_add_f64 v[4:5], v[153:154], v[4:5]
	v_mul_f64 v[153:154], v[84:85], s[24:25]
	s_delay_alu instid0(VALU_DEP_3) | instskip(NEXT) | instid1(VALU_DEP_2)
	v_add_f64 v[8:9], v[12:13], v[8:9]
	v_fma_f64 v[155:156], v[20:21], s[10:11], -v[153:154]
	v_fma_f64 v[12:13], v[20:21], s[10:11], v[153:154]
	s_delay_alu instid0(VALU_DEP_2) | instskip(SKIP_1) | instid1(VALU_DEP_3)
	v_add_f64 v[6:7], v[155:156], v[6:7]
	v_mul_f64 v[155:156], v[98:99], s[44:45]
	v_add_f64 v[10:11], v[12:13], v[10:11]
	s_delay_alu instid0(VALU_DEP_2) | instskip(SKIP_1) | instid1(VALU_DEP_2)
	v_fma_f64 v[169:170], v[32:33], s[18:19], v[155:156]
	v_fma_f64 v[12:13], v[32:33], s[18:19], -v[155:156]
	v_add_f64 v[4:5], v[169:170], v[4:5]
	v_mul_f64 v[169:170], v[88:89], s[44:45]
	s_delay_alu instid0(VALU_DEP_3) | instskip(NEXT) | instid1(VALU_DEP_2)
	v_add_f64 v[8:9], v[12:13], v[8:9]
	v_fma_f64 v[171:172], v[30:31], s[18:19], -v[169:170]
	v_fma_f64 v[12:13], v[30:31], s[18:19], v[169:170]
	s_delay_alu instid0(VALU_DEP_2) | instskip(SKIP_1) | instid1(VALU_DEP_3)
	;; [unrolled: 13-line block ×3, first 2 shown]
	v_add_f64 v[175:176], v[175:176], v[6:7]
	v_fma_f64 v[6:7], v[92:93], s[16:17], v[177:178]
	v_add_f64 v[12:13], v[12:13], v[10:11]
	v_fma_f64 v[10:11], v[92:93], s[16:17], -v[177:178]
	v_mul_f64 v[177:178], v[94:95], s[46:47]
	s_delay_alu instid0(VALU_DEP_4) | instskip(SKIP_3) | instid1(VALU_DEP_3)
	v_add_f64 v[2:3], v[6:7], v[4:5]
	v_fma_f64 v[4:5], v[56:57], s[16:17], -v[179:180]
	v_mul_f64 v[179:180], v[96:97], s[46:47]
	v_fma_f64 v[6:7], v[28:29], s[16:17], v[183:184]
	v_add_f64 v[0:1], v[4:5], v[175:176]
	v_mul_f64 v[4:5], v[98:99], s[28:29]
	scratch_store_b128 off, v[0:3], off offset:28 ; 16-byte Folded Spill
	v_add_f64 v[0:1], v[14:15], v[12:13]
	v_fma_f64 v[12:13], v[70:71], s[18:19], v[109:110]
	v_fma_f64 v[14:15], v[68:69], s[18:19], -v[111:112]
	v_fma_f64 v[109:110], v[70:71], s[18:19], -v[109:110]
	v_fma_f64 v[111:112], v[68:69], s[18:19], v[111:112]
	v_add_f64 v[2:3], v[10:11], v[8:9]
	v_fma_f64 v[10:11], v[92:93], s[6:7], -v[52:53]
	v_mul_f64 v[8:9], v[86:87], s[40:41]
	v_add_f64 v[12:13], v[12:13], v[115:116]
	v_fma_f64 v[115:116], v[76:77], s[16:17], v[113:114]
	v_add_f64 v[14:15], v[14:15], v[143:144]
	v_add_f64 v[109:110], v[109:110], v[157:158]
	v_fma_f64 v[113:114], v[76:77], s[16:17], -v[113:114]
	v_add_f64 v[111:112], v[111:112], v[129:130]
	v_mul_f64 v[157:158], v[90:91], s[26:27]
	scratch_store_b128 off, v[0:3], off offset:44 ; 16-byte Folded Spill
	v_add_f64 v[12:13], v[115:116], v[12:13]
	v_mul_f64 v[115:116], v[72:73], s[42:43]
	v_add_f64 v[109:110], v[113:114], v[109:110]
	s_delay_alu instid0(VALU_DEP_2) | instskip(SKIP_2) | instid1(VALU_DEP_3)
	v_fma_f64 v[139:140], v[34:35], s[16:17], -v[115:116]
	v_fma_f64 v[113:114], v[34:35], s[16:17], v[115:116]
	v_fma_f64 v[115:116], v[56:57], s[14:15], v[179:180]
	v_add_f64 v[14:15], v[139:140], v[14:15]
	v_mul_f64 v[139:140], v[86:87], s[50:51]
	s_delay_alu instid0(VALU_DEP_4) | instskip(NEXT) | instid1(VALU_DEP_2)
	v_add_f64 v[111:112], v[113:114], v[111:112]
	v_fma_f64 v[141:142], v[18:19], s[10:11], v[139:140]
	v_fma_f64 v[113:114], v[18:19], s[10:11], -v[139:140]
	v_mul_f64 v[139:140], v[102:103], s[52:53]
	s_delay_alu instid0(VALU_DEP_3) | instskip(SKIP_1) | instid1(VALU_DEP_4)
	v_add_f64 v[12:13], v[141:142], v[12:13]
	v_mul_f64 v[141:142], v[78:79], s[50:51]
	v_add_f64 v[109:110], v[113:114], v[109:110]
	s_delay_alu instid0(VALU_DEP_2) | instskip(SKIP_2) | instid1(VALU_DEP_3)
	v_fma_f64 v[143:144], v[16:17], s[10:11], -v[141:142]
	v_fma_f64 v[113:114], v[16:17], s[10:11], v[141:142]
	v_mul_f64 v[141:142], v[74:75], s[52:53]
	v_add_f64 v[14:15], v[143:144], v[14:15]
	v_mul_f64 v[143:144], v[90:91], s[28:29]
	s_delay_alu instid0(VALU_DEP_4) | instskip(NEXT) | instid1(VALU_DEP_2)
	v_add_f64 v[111:112], v[113:114], v[111:112]
	v_fma_f64 v[153:154], v[22:23], s[22:23], v[143:144]
	v_fma_f64 v[113:114], v[22:23], s[22:23], -v[143:144]
	v_mul_f64 v[143:144], v[100:101], s[28:29]
	s_delay_alu instid0(VALU_DEP_3) | instskip(SKIP_1) | instid1(VALU_DEP_4)
	v_add_f64 v[12:13], v[153:154], v[12:13]
	v_mul_f64 v[153:154], v[84:85], s[28:29]
	v_add_f64 v[109:110], v[113:114], v[109:110]
	s_delay_alu instid0(VALU_DEP_2) | instskip(SKIP_3) | instid1(VALU_DEP_4)
	v_fma_f64 v[155:156], v[20:21], s[22:23], -v[153:154]
	v_fma_f64 v[113:114], v[20:21], s[22:23], v[153:154]
	v_mul_f64 v[153:154], v[86:87], s[38:39]
	v_mul_f64 v[86:87], v[86:87], s[36:37]
	v_add_f64 v[14:15], v[155:156], v[14:15]
	v_mul_f64 v[155:156], v[98:99], s[30:31]
	v_add_f64 v[111:112], v[113:114], v[111:112]
	s_delay_alu instid0(VALU_DEP_2)
	v_fma_f64 v[169:170], v[32:33], s[4:5], v[155:156]
	v_fma_f64 v[113:114], v[32:33], s[4:5], -v[155:156]
	v_mul_f64 v[155:156], v[78:79], s[38:39]
	scratch_load_b64 v[78:79], off, off offset:156 ; 8-byte Folded Reload
	v_add_f64 v[12:13], v[169:170], v[12:13]
	v_mul_f64 v[169:170], v[88:89], s[30:31]
	v_add_f64 v[109:110], v[113:114], v[109:110]
	s_delay_alu instid0(VALU_DEP_2) | instskip(SKIP_2) | instid1(VALU_DEP_3)
	v_fma_f64 v[171:172], v[30:31], s[4:5], -v[169:170]
	v_fma_f64 v[113:114], v[30:31], s[4:5], v[169:170]
	v_mul_f64 v[169:170], v[84:85], s[26:27]
	v_add_f64 v[14:15], v[171:172], v[14:15]
	v_mul_f64 v[171:172], v[80:81], s[34:35]
	s_delay_alu instid0(VALU_DEP_4) | instskip(NEXT) | instid1(VALU_DEP_2)
	v_add_f64 v[111:112], v[113:114], v[111:112]
	v_fma_f64 v[173:174], v[58:59], s[20:21], v[171:172]
	v_fma_f64 v[113:114], v[58:59], s[20:21], -v[171:172]
	v_mul_f64 v[171:172], v[98:99], s[48:49]
	s_delay_alu instid0(VALU_DEP_3) | instskip(SKIP_1) | instid1(VALU_DEP_4)
	v_add_f64 v[12:13], v[173:174], v[12:13]
	v_mul_f64 v[173:174], v[82:83], s[34:35]
	v_add_f64 v[109:110], v[113:114], v[109:110]
	s_delay_alu instid0(VALU_DEP_2) | instskip(SKIP_2) | instid1(VALU_DEP_3)
	v_fma_f64 v[113:114], v[28:29], s[20:21], v[173:174]
	v_fma_f64 v[175:176], v[28:29], s[20:21], -v[173:174]
	v_mul_f64 v[173:174], v[88:89], s[48:49]
	v_add_f64 v[113:114], v[113:114], v[111:112]
	s_delay_alu instid0(VALU_DEP_3)
	v_add_f64 v[175:176], v[175:176], v[14:15]
	v_fma_f64 v[14:15], v[92:93], s[14:15], v[177:178]
	v_fma_f64 v[111:112], v[92:93], s[14:15], -v[177:178]
	v_mul_f64 v[177:178], v[82:83], s[30:31]
	v_mul_f64 v[82:83], v[82:83], s[28:29]
	v_add_f64 v[159:160], v[115:116], v[113:114]
	v_fma_f64 v[113:114], v[70:71], s[14:15], v[139:140]
	v_fma_f64 v[115:116], v[68:69], s[14:15], -v[141:142]
	v_add_f64 v[2:3], v[14:15], v[12:13]
	v_fma_f64 v[12:13], v[56:57], s[14:15], -v[179:180]
	v_mul_f64 v[179:180], v[94:95], s[44:45]
	v_add_f64 v[161:162], v[111:112], v[109:110]
	v_mul_f64 v[111:112], v[84:85], s[46:47]
	v_mul_f64 v[109:110], v[98:99], s[24:25]
	s_mov_b32 s47, 0x3fe0d888
	s_mov_b32 s46, s38
	;; [unrolled: 1-line block ×3, first 2 shown]
	v_mul_f64 v[226:227], v[90:91], s[46:47]
	v_mul_f64 v[228:229], v[84:85], s[46:47]
	s_mov_b32 s44, s30
	v_fma_f64 v[14:15], v[68:69], s[4:5], v[54:55]
	v_mul_f64 v[244:245], v[100:101], s[44:45]
	v_mul_f64 v[246:247], v[72:73], s[44:45]
	;; [unrolled: 1-line block ×6, first 2 shown]
	v_add_f64 v[113:114], v[113:114], v[117:118]
	v_add_f64 v[115:116], v[115:116], v[145:146]
	v_fma_f64 v[117:118], v[76:77], s[22:23], v[143:144]
	v_mul_f64 v[145:146], v[72:73], s[28:29]
	v_add_f64 v[0:1], v[12:13], v[175:176]
	v_mul_f64 v[175:176], v[80:81], s[30:31]
	v_mul_f64 v[12:13], v[88:89], s[24:25]
	v_add_f64 v[14:15], v[14:15], v[131:132]
	v_add_f64 v[113:114], v[117:118], v[113:114]
	v_fma_f64 v[117:118], v[34:35], s[22:23], -v[145:146]
	scratch_store_b128 off, v[0:3], off offset:92 ; 16-byte Folded Spill
	v_mul_f64 v[0:1], v[102:103], s[48:49]
	v_mul_f64 v[2:3], v[88:89], s[28:29]
	;; [unrolled: 1-line block ×3, first 2 shown]
	v_add_f64 v[115:116], v[117:118], v[115:116]
	v_fma_f64 v[117:118], v[18:19], s[6:7], v[153:154]
	scratch_store_b64 off, v[0:1], off offset:172 ; 8-byte Folded Spill
	v_add_f64 v[113:114], v[117:118], v[113:114]
	v_fma_f64 v[117:118], v[16:17], s[6:7], -v[155:156]
	s_delay_alu instid0(VALU_DEP_1) | instskip(SKIP_1) | instid1(VALU_DEP_1)
	v_add_f64 v[115:116], v[117:118], v[115:116]
	v_fma_f64 v[117:118], v[22:23], s[16:17], v[157:158]
	v_add_f64 v[113:114], v[117:118], v[113:114]
	v_fma_f64 v[117:118], v[20:21], s[16:17], -v[169:170]
	s_delay_alu instid0(VALU_DEP_1) | instskip(SKIP_1) | instid1(VALU_DEP_1)
	v_add_f64 v[115:116], v[117:118], v[115:116]
	v_fma_f64 v[117:118], v[32:33], s[20:21], v[171:172]
	v_add_f64 v[113:114], v[117:118], v[113:114]
	v_fma_f64 v[117:118], v[30:31], s[20:21], -v[173:174]
	s_delay_alu instid0(VALU_DEP_1) | instskip(SKIP_1) | instid1(VALU_DEP_1)
	v_add_f64 v[115:116], v[117:118], v[115:116]
	v_fma_f64 v[117:118], v[58:59], s[4:5], v[175:176]
	v_add_f64 v[113:114], v[117:118], v[113:114]
	v_fma_f64 v[117:118], v[28:29], s[4:5], -v[177:178]
	s_delay_alu instid0(VALU_DEP_1) | instskip(SKIP_1) | instid1(VALU_DEP_1)
	v_add_f64 v[117:118], v[117:118], v[115:116]
	v_fma_f64 v[115:116], v[92:93], s[18:19], v[179:180]
	v_add_f64 v[115:116], v[115:116], v[113:114]
	v_fma_f64 v[113:114], v[56:57], s[18:19], -v[181:182]
	s_delay_alu instid0(VALU_DEP_1) | instskip(SKIP_2) | instid1(VALU_DEP_2)
	v_add_f64 v[113:114], v[113:114], v[117:118]
	v_fma_f64 v[117:118], v[70:71], s[20:21], -v[0:1]
	v_mul_f64 v[0:1], v[74:75], s[48:49]
	v_add_f64 v[117:118], v[117:118], v[119:120]
	scratch_store_b64 off, v[0:1], off offset:180 ; 8-byte Folded Spill
	v_fma_f64 v[119:120], v[68:69], s[20:21], v[0:1]
	v_mul_f64 v[0:1], v[100:101], s[36:37]
	s_delay_alu instid0(VALU_DEP_2) | instskip(NEXT) | instid1(VALU_DEP_2)
	v_add_f64 v[119:120], v[119:120], v[123:124]
	v_fma_f64 v[123:124], v[76:77], s[18:19], -v[0:1]
	scratch_store_b64 off, v[0:1], off offset:188 ; 8-byte Folded Spill
	v_mul_f64 v[0:1], v[100:101], s[52:53]
	v_mul_f64 v[100:101], v[100:101], s[34:35]
	v_add_f64 v[117:118], v[123:124], v[117:118]
	v_fma_f64 v[123:124], v[34:35], s[18:19], v[163:164]
	s_delay_alu instid0(VALU_DEP_4) | instskip(NEXT) | instid1(VALU_DEP_2)
	v_fma_f64 v[62:63], v[76:77], s[14:15], -v[0:1]
	v_add_f64 v[119:120], v[123:124], v[119:120]
	v_fma_f64 v[123:124], v[18:19], s[16:17], -v[149:150]
	s_delay_alu instid0(VALU_DEP_1) | instskip(SKIP_1) | instid1(VALU_DEP_1)
	v_add_f64 v[117:118], v[123:124], v[117:118]
	v_fma_f64 v[123:124], v[16:17], s[16:17], v[147:148]
	v_add_f64 v[119:120], v[123:124], v[119:120]
	v_fma_f64 v[123:124], v[22:23], s[14:15], -v[137:138]
	s_delay_alu instid0(VALU_DEP_1) | instskip(SKIP_1) | instid1(VALU_DEP_1)
	v_add_f64 v[117:118], v[123:124], v[117:118]
	v_fma_f64 v[123:124], v[20:21], s[14:15], v[111:112]
	v_add_f64 v[119:120], v[123:124], v[119:120]
	v_fma_f64 v[123:124], v[32:33], s[10:11], -v[109:110]
	s_delay_alu instid0(VALU_DEP_1) | instskip(SKIP_2) | instid1(VALU_DEP_2)
	v_add_f64 v[117:118], v[123:124], v[117:118]
	v_fma_f64 v[123:124], v[30:31], s[10:11], v[12:13]
	v_fma_f64 v[12:13], v[30:31], s[10:11], -v[12:13]
	v_add_f64 v[119:120], v[123:124], v[119:120]
	v_fma_f64 v[123:124], v[58:59], s[6:7], -v[133:134]
	s_delay_alu instid0(VALU_DEP_1) | instskip(SKIP_1) | instid1(VALU_DEP_1)
	v_add_f64 v[117:118], v[123:124], v[117:118]
	v_fma_f64 v[123:124], v[28:29], s[6:7], v[60:61]
	v_add_f64 v[123:124], v[123:124], v[119:120]
	v_fma_f64 v[119:120], v[92:93], s[4:5], -v[26:27]
	s_delay_alu instid0(VALU_DEP_1) | instskip(SKIP_1) | instid1(VALU_DEP_1)
	v_add_f64 v[119:120], v[119:120], v[117:118]
	v_fma_f64 v[117:118], v[56:57], s[4:5], v[212:213]
	v_add_f64 v[117:118], v[117:118], v[123:124]
	v_fma_f64 v[123:124], v[70:71], s[16:17], -v[214:215]
	s_delay_alu instid0(VALU_DEP_1) | instskip(SKIP_1) | instid1(VALU_DEP_1)
	v_add_f64 v[121:122], v[123:124], v[121:122]
	v_fma_f64 v[123:124], v[68:69], s[16:17], v[216:217]
	v_add_f64 v[123:124], v[123:124], v[125:126]
	v_fma_f64 v[125:126], v[76:77], s[10:11], -v[218:219]
	s_delay_alu instid0(VALU_DEP_1) | instskip(SKIP_1) | instid1(VALU_DEP_1)
	v_add_f64 v[121:122], v[125:126], v[121:122]
	v_fma_f64 v[125:126], v[34:35], s[10:11], v[220:221]
	v_add_f64 v[123:124], v[125:126], v[123:124]
	v_fma_f64 v[125:126], v[18:19], s[4:5], -v[222:223]
	s_delay_alu instid0(VALU_DEP_1) | instskip(SKIP_1) | instid1(VALU_DEP_1)
	v_add_f64 v[121:122], v[125:126], v[121:122]
	v_fma_f64 v[125:126], v[16:17], s[4:5], v[224:225]
	v_add_f64 v[123:124], v[125:126], v[123:124]
	v_fma_f64 v[125:126], v[22:23], s[6:7], -v[226:227]
	s_delay_alu instid0(VALU_DEP_1) | instskip(SKIP_1) | instid1(VALU_DEP_1)
	v_add_f64 v[121:122], v[125:126], v[121:122]
	v_fma_f64 v[125:126], v[20:21], s[6:7], v[228:229]
	v_add_f64 v[123:124], v[125:126], v[123:124]
	v_fma_f64 v[125:126], v[32:33], s[14:15], -v[230:231]
	s_delay_alu instid0(VALU_DEP_1) | instskip(SKIP_1) | instid1(VALU_DEP_1)
	v_add_f64 v[121:122], v[125:126], v[121:122]
	v_fma_f64 v[125:126], v[30:31], s[14:15], v[232:233]
	v_add_f64 v[123:124], v[125:126], v[123:124]
	v_fma_f64 v[125:126], v[58:59], s[18:19], -v[234:235]
	s_delay_alu instid0(VALU_DEP_1) | instskip(SKIP_1) | instid1(VALU_DEP_1)
	v_add_f64 v[121:122], v[125:126], v[121:122]
	v_fma_f64 v[125:126], v[28:29], s[18:19], v[236:237]
	v_add_f64 v[125:126], v[125:126], v[123:124]
	v_fma_f64 v[123:124], v[92:93], s[22:23], -v[238:239]
	s_delay_alu instid0(VALU_DEP_1) | instskip(SKIP_1) | instid1(VALU_DEP_1)
	v_add_f64 v[123:124], v[123:124], v[121:122]
	v_fma_f64 v[121:122], v[56:57], s[22:23], v[240:241]
	v_add_f64 v[121:122], v[121:122], v[125:126]
	v_fma_f64 v[125:126], v[70:71], s[10:11], -v[242:243]
	s_delay_alu instid0(VALU_DEP_1) | instskip(SKIP_1) | instid1(VALU_DEP_1)
	v_add_f64 v[125:126], v[125:126], v[135:136]
	v_mul_f64 v[135:136], v[74:75], s[24:25]
	v_fma_f64 v[129:130], v[68:69], s[10:11], v[135:136]
	s_delay_alu instid0(VALU_DEP_1) | instskip(SKIP_1) | instid1(VALU_DEP_1)
	v_add_f64 v[127:128], v[129:130], v[127:128]
	v_fma_f64 v[129:130], v[76:77], s[4:5], -v[244:245]
	v_add_f64 v[125:126], v[129:130], v[125:126]
	v_fma_f64 v[129:130], v[34:35], s[4:5], v[246:247]
	s_delay_alu instid0(VALU_DEP_1) | instskip(SKIP_1) | instid1(VALU_DEP_1)
	v_add_f64 v[127:128], v[129:130], v[127:128]
	v_fma_f64 v[129:130], v[18:19], s[14:15], -v[248:249]
	v_add_f64 v[125:126], v[129:130], v[125:126]
	;; [unrolled: 5-line block ×4, first 2 shown]
	v_fma_f64 v[129:130], v[30:31], s[22:23], v[2:3]
	s_delay_alu instid0(VALU_DEP_1) | instskip(SKIP_1) | instid1(VALU_DEP_2)
	v_add_f64 v[127:128], v[129:130], v[127:128]
	v_fma_f64 v[129:130], v[58:59], s[16:17], -v[24:25]
	v_add_f64 v[6:7], v[6:7], v[127:128]
	s_delay_alu instid0(VALU_DEP_2) | instskip(NEXT) | instid1(VALU_DEP_1)
	v_add_f64 v[125:126], v[129:130], v[125:126]
	v_add_f64 v[127:128], v[10:11], v[125:126]
	v_mul_f64 v[10:11], v[96:97], s[38:39]
	s_delay_alu instid0(VALU_DEP_1) | instskip(SKIP_1) | instid1(VALU_DEP_2)
	v_fma_f64 v[125:126], v[56:57], s[6:7], v[10:11]
	v_fma_f64 v[10:11], v[56:57], s[6:7], -v[10:11]
	v_add_f64 v[125:126], v[125:126], v[6:7]
	v_mul_f64 v[6:7], v[102:103], s[30:31]
	s_delay_alu instid0(VALU_DEP_1) | instskip(SKIP_1) | instid1(VALU_DEP_2)
	v_fma_f64 v[129:130], v[70:71], s[4:5], -v[6:7]
	v_fma_f64 v[6:7], v[70:71], s[4:5], v[6:7]
	v_add_f64 v[106:107], v[129:130], v[106:107]
	s_delay_alu instid0(VALU_DEP_1) | instskip(SKIP_2) | instid1(VALU_DEP_2)
	v_add_f64 v[62:63], v[62:63], v[106:107]
	v_mul_f64 v[106:107], v[72:73], s[52:53]
	v_fma_f64 v[72:73], v[34:35], s[20:21], v[165:166]
	v_fma_f64 v[129:130], v[34:35], s[14:15], v[106:107]
	s_delay_alu instid0(VALU_DEP_1) | instskip(SKIP_1) | instid1(VALU_DEP_1)
	v_add_f64 v[14:15], v[129:130], v[14:15]
	v_fma_f64 v[129:130], v[18:19], s[22:23], -v[8:9]
	v_add_f64 v[62:63], v[129:130], v[62:63]
	v_fma_f64 v[129:130], v[16:17], s[22:23], v[193:194]
	s_delay_alu instid0(VALU_DEP_1) | instskip(SKIP_1) | instid1(VALU_DEP_1)
	v_add_f64 v[14:15], v[129:130], v[14:15]
	v_fma_f64 v[129:130], v[22:23], s[18:19], -v[195:196]
	v_add_f64 v[62:63], v[129:130], v[62:63]
	;; [unrolled: 5-line block ×5, first 2 shown]
	v_mul_f64 v[62:63], v[96:97], s[34:35]
	v_mul_f64 v[96:97], v[96:97], s[24:25]
	s_delay_alu instid0(VALU_DEP_2) | instskip(SKIP_1) | instid1(VALU_DEP_2)
	v_fma_f64 v[129:130], v[56:57], s[20:21], v[62:63]
	v_fma_f64 v[62:63], v[56:57], s[20:21], -v[62:63]
	v_add_f64 v[129:130], v[129:130], v[14:15]
	v_mul_f64 v[14:15], v[102:103], s[46:47]
	s_delay_alu instid0(VALU_DEP_1) | instskip(SKIP_1) | instid1(VALU_DEP_2)
	v_fma_f64 v[102:103], v[70:71], s[6:7], -v[14:15]
	v_fma_f64 v[14:15], v[70:71], s[6:7], v[14:15]
	v_add_f64 v[66:67], v[102:103], v[66:67]
	v_mul_f64 v[102:103], v[74:75], s[46:47]
	s_delay_alu instid0(VALU_DEP_1) | instskip(NEXT) | instid1(VALU_DEP_1)
	v_fma_f64 v[74:75], v[68:69], s[6:7], v[102:103]
	v_add_f64 v[64:65], v[74:75], v[64:65]
	v_fma_f64 v[74:75], v[76:77], s[20:21], -v[100:101]
	s_delay_alu instid0(VALU_DEP_2) | instskip(NEXT) | instid1(VALU_DEP_2)
	v_add_f64 v[64:65], v[72:73], v[64:65]
	v_add_f64 v[66:67], v[74:75], v[66:67]
	v_fma_f64 v[72:73], v[18:19], s[18:19], -v[86:87]
	s_delay_alu instid0(VALU_DEP_1) | instskip(SKIP_1) | instid1(VALU_DEP_1)
	v_add_f64 v[66:67], v[72:73], v[66:67]
	v_fma_f64 v[72:73], v[16:17], s[18:19], v[205:206]
	v_add_f64 v[64:65], v[72:73], v[64:65]
	v_fma_f64 v[72:73], v[22:23], s[4:5], -v[90:91]
	s_delay_alu instid0(VALU_DEP_1) | instskip(SKIP_1) | instid1(VALU_DEP_1)
	v_add_f64 v[66:67], v[72:73], v[66:67]
	v_fma_f64 v[72:73], v[20:21], s[4:5], v[84:85]
	;; [unrolled: 5-line block ×5, first 2 shown]
	v_add_f64 v[72:73], v[66:67], v[64:65]
	scratch_load_b64 v[66:67], off, off offset:164 ; 8-byte Folded Reload
	v_fma_f64 v[64:65], v[70:71], s[14:15], -v[139:140]
	v_fma_f64 v[139:140], v[56:57], s[18:19], v[181:182]
	s_waitcnt vmcnt(0)
	s_delay_alu instid0(VALU_DEP_2) | instskip(SKIP_1) | instid1(VALU_DEP_1)
	v_add_f64 v[64:65], v[64:65], v[66:67]
	v_fma_f64 v[66:67], v[68:69], s[14:15], v[141:142]
	v_add_f64 v[66:67], v[66:67], v[78:79]
	v_fma_f64 v[78:79], v[76:77], s[22:23], -v[143:144]
	s_delay_alu instid0(VALU_DEP_1) | instskip(SKIP_1) | instid1(VALU_DEP_1)
	v_add_f64 v[64:65], v[78:79], v[64:65]
	v_fma_f64 v[78:79], v[34:35], s[22:23], v[145:146]
	v_add_f64 v[66:67], v[78:79], v[66:67]
	v_fma_f64 v[78:79], v[18:19], s[6:7], -v[153:154]
	s_delay_alu instid0(VALU_DEP_1) | instskip(SKIP_1) | instid1(VALU_DEP_1)
	v_add_f64 v[64:65], v[78:79], v[64:65]
	v_fma_f64 v[78:79], v[16:17], s[6:7], v[155:156]
	v_add_f64 v[66:67], v[78:79], v[66:67]
	v_fma_f64 v[78:79], v[22:23], s[16:17], -v[157:158]
	s_delay_alu instid0(VALU_DEP_1) | instskip(SKIP_1) | instid1(VALU_DEP_1)
	v_add_f64 v[64:65], v[78:79], v[64:65]
	v_fma_f64 v[78:79], v[20:21], s[16:17], v[169:170]
	v_add_f64 v[66:67], v[78:79], v[66:67]
	v_fma_f64 v[78:79], v[32:33], s[20:21], -v[171:172]
	v_dual_mov_b32 v172, v39 :: v_dual_mov_b32 v171, v38
	v_dual_mov_b32 v170, v37 :: v_dual_mov_b32 v169, v36
	scratch_load_b64 v[36:37], off, off offset:148 ; 8-byte Folded Reload
	v_add_f64 v[64:65], v[78:79], v[64:65]
	v_fma_f64 v[78:79], v[30:31], s[20:21], v[173:174]
	s_delay_alu instid0(VALU_DEP_1) | instskip(SKIP_1) | instid1(VALU_DEP_1)
	v_add_f64 v[66:67], v[78:79], v[66:67]
	v_fma_f64 v[78:79], v[58:59], s[4:5], -v[175:176]
	v_add_f64 v[64:65], v[78:79], v[64:65]
	v_fma_f64 v[78:79], v[28:29], s[4:5], v[177:178]
	s_delay_alu instid0(VALU_DEP_1) | instskip(SKIP_1) | instid1(VALU_DEP_1)
	v_add_f64 v[66:67], v[78:79], v[66:67]
	v_fma_f64 v[78:79], v[92:93], s[18:19], -v[179:180]
	v_add_f64 v[80:81], v[78:79], v[64:65]
	s_delay_alu instid0(VALU_DEP_3)
	v_add_f64 v[78:79], v[139:140], v[66:67]
	v_fma_f64 v[64:65], v[68:69], s[6:7], -v[102:103]
	v_fma_f64 v[66:67], v[76:77], s[20:21], v[100:101]
	s_waitcnt vmcnt(0)
	v_add_f64 v[14:15], v[14:15], v[36:37]
	scratch_load_b64 v[36:37], off, off offset:140 ; 8-byte Folded Reload
	v_add_f64 v[14:15], v[66:67], v[14:15]
	v_fma_f64 v[66:67], v[34:35], s[20:21], -v[165:166]
	s_waitcnt vmcnt(0)
	v_add_f64 v[64:65], v[64:65], v[36:37]
	s_delay_alu instid0(VALU_DEP_1) | instskip(SKIP_1) | instid1(VALU_DEP_1)
	v_add_f64 v[64:65], v[66:67], v[64:65]
	v_fma_f64 v[66:67], v[18:19], s[18:19], v[86:87]
	v_add_f64 v[14:15], v[66:67], v[14:15]
	v_fma_f64 v[66:67], v[16:17], s[18:19], -v[205:206]
	s_delay_alu instid0(VALU_DEP_1) | instskip(SKIP_1) | instid1(VALU_DEP_1)
	v_add_f64 v[64:65], v[66:67], v[64:65]
	v_fma_f64 v[66:67], v[22:23], s[4:5], v[90:91]
	v_add_f64 v[14:15], v[66:67], v[14:15]
	v_fma_f64 v[66:67], v[20:21], s[4:5], -v[84:85]
	;; [unrolled: 5-line block ×4, first 2 shown]
	v_fma_f64 v[82:83], v[56:57], s[10:11], -v[96:97]
	s_delay_alu instid0(VALU_DEP_2) | instskip(SKIP_1) | instid1(VALU_DEP_2)
	v_add_f64 v[64:65], v[66:67], v[64:65]
	v_fma_f64 v[66:67], v[92:93], s[10:11], v[94:95]
	v_add_f64 v[82:83], v[82:83], v[64:65]
	s_delay_alu instid0(VALU_DEP_2)
	v_add_f64 v[84:85], v[66:67], v[14:15]
	scratch_load_b64 v[14:15], off, off offset:132 ; 8-byte Folded Reload
	v_fma_f64 v[64:65], v[34:35], s[14:15], -v[106:107]
	s_waitcnt vmcnt(0)
	v_add_f64 v[6:7], v[6:7], v[14:15]
	v_fma_f64 v[14:15], v[76:77], s[14:15], v[0:1]
	scratch_load_b64 v[0:1], off, off offset:124 ; 8-byte Folded Reload
	v_add_f64 v[6:7], v[14:15], v[6:7]
	v_fma_f64 v[14:15], v[18:19], s[22:23], v[8:9]
	v_fma_f64 v[8:9], v[58:59], s[6:7], v[133:134]
	s_delay_alu instid0(VALU_DEP_2) | instskip(SKIP_1) | instid1(VALU_DEP_1)
	v_add_f64 v[6:7], v[14:15], v[6:7]
	v_fma_f64 v[14:15], v[22:23], s[18:19], v[195:196]
	v_add_f64 v[6:7], v[14:15], v[6:7]
	v_fma_f64 v[14:15], v[32:33], s[6:7], v[151:152]
	s_delay_alu instid0(VALU_DEP_1) | instskip(SKIP_2) | instid1(VALU_DEP_1)
	v_add_f64 v[6:7], v[14:15], v[6:7]
	v_fma_f64 v[14:15], v[68:69], s[4:5], -v[54:55]
	s_waitcnt vmcnt(0)
	v_add_f64 v[14:15], v[14:15], v[0:1]
	scratch_load_b64 v[0:1], off, off offset:116 ; 8-byte Folded Reload
	v_add_f64 v[14:15], v[64:65], v[14:15]
	v_fma_f64 v[64:65], v[16:17], s[22:23], -v[193:194]
	s_delay_alu instid0(VALU_DEP_1) | instskip(SKIP_1) | instid1(VALU_DEP_1)
	v_add_f64 v[14:15], v[64:65], v[14:15]
	v_fma_f64 v[64:65], v[20:21], s[18:19], -v[197:198]
	v_add_f64 v[14:15], v[64:65], v[14:15]
	v_fma_f64 v[64:65], v[30:31], s[6:7], -v[199:200]
	s_delay_alu instid0(VALU_DEP_1) | instskip(SKIP_1) | instid1(VALU_DEP_1)
	v_add_f64 v[14:15], v[64:65], v[14:15]
	v_fma_f64 v[64:65], v[58:59], s[10:11], v[201:202]
	v_add_f64 v[6:7], v[64:65], v[6:7]
	v_fma_f64 v[64:65], v[28:29], s[10:11], -v[167:168]
	s_delay_alu instid0(VALU_DEP_1) | instskip(SKIP_1) | instid1(VALU_DEP_2)
	v_add_f64 v[14:15], v[64:65], v[14:15]
	v_fma_f64 v[64:65], v[92:93], s[20:21], v[203:204]
	v_add_f64 v[86:87], v[62:63], v[14:15]
	s_delay_alu instid0(VALU_DEP_2) | instskip(SKIP_4) | instid1(VALU_DEP_3)
	v_add_f64 v[88:89], v[64:65], v[6:7]
	v_fma_f64 v[6:7], v[70:71], s[10:11], v[242:243]
	v_fma_f64 v[14:15], v[68:69], s[10:11], -v[135:136]
	v_fma_f64 v[62:63], v[76:77], s[4:5], v[244:245]
	s_waitcnt vmcnt(0)
	v_add_f64 v[6:7], v[6:7], v[0:1]
	scratch_load_b64 v[0:1], off, off offset:108 ; 8-byte Folded Reload
	v_add_f64 v[6:7], v[62:63], v[6:7]
	v_fma_f64 v[62:63], v[34:35], s[4:5], -v[246:247]
	s_waitcnt vmcnt(0)
	v_add_f64 v[14:15], v[14:15], v[0:1]
	v_fma_f64 v[0:1], v[30:31], s[22:23], -v[2:3]
	scratch_load_b64 v[2:3], off, off offset:84 ; 8-byte Folded Reload
	v_add_f64 v[14:15], v[62:63], v[14:15]
	v_fma_f64 v[62:63], v[18:19], s[14:15], v[248:249]
	s_delay_alu instid0(VALU_DEP_1) | instskip(SKIP_1) | instid1(VALU_DEP_1)
	v_add_f64 v[6:7], v[62:63], v[6:7]
	v_fma_f64 v[62:63], v[16:17], s[14:15], -v[250:251]
	v_add_f64 v[14:15], v[62:63], v[14:15]
	v_fma_f64 v[62:63], v[22:23], s[20:21], v[252:253]
	v_mov_b32_e32 v253, v105
	s_delay_alu instid0(VALU_DEP_2) | instskip(SKIP_1) | instid1(VALU_DEP_1)
	v_add_f64 v[6:7], v[62:63], v[6:7]
	v_fma_f64 v[62:63], v[20:21], s[20:21], -v[210:211]
	v_add_f64 v[14:15], v[62:63], v[14:15]
	v_fma_f64 v[62:63], v[32:33], s[22:23], v[4:5]
	v_fma_f64 v[4:5], v[28:29], s[6:7], -v[60:61]
	s_delay_alu instid0(VALU_DEP_3) | instskip(NEXT) | instid1(VALU_DEP_3)
	v_add_f64 v[0:1], v[0:1], v[14:15]
	v_add_f64 v[6:7], v[62:63], v[6:7]
	v_fma_f64 v[14:15], v[58:59], s[16:17], v[24:25]
	s_delay_alu instid0(VALU_DEP_1) | instskip(SKIP_3) | instid1(VALU_DEP_3)
	v_add_f64 v[6:7], v[14:15], v[6:7]
	v_fma_f64 v[14:15], v[28:29], s[16:17], -v[183:184]
	v_dual_mov_b32 v184, v51 :: v_dual_mov_b32 v181, v48
	v_dual_mov_b32 v183, v50 :: v_dual_mov_b32 v182, v49
	v_add_f64 v[0:1], v[14:15], v[0:1]
	v_fma_f64 v[14:15], v[92:93], s[6:7], v[52:53]
	s_delay_alu instid0(VALU_DEP_2) | instskip(SKIP_1) | instid1(VALU_DEP_3)
	v_add_f64 v[94:95], v[10:11], v[0:1]
	v_fma_f64 v[0:1], v[70:71], s[16:17], v[214:215]
	v_add_f64 v[96:97], v[14:15], v[6:7]
	v_fma_f64 v[6:7], v[68:69], s[16:17], -v[216:217]
	v_fma_f64 v[10:11], v[76:77], s[10:11], v[218:219]
	v_fma_f64 v[14:15], v[56:57], s[22:23], -v[240:241]
	s_waitcnt vmcnt(0)
	v_add_f64 v[0:1], v[0:1], v[2:3]
	scratch_load_b64 v[2:3], off, off offset:76 ; 8-byte Folded Reload
	v_add_f64 v[0:1], v[10:11], v[0:1]
	v_fma_f64 v[10:11], v[34:35], s[10:11], -v[220:221]
	v_mov_b32_e32 v220, v108
	s_waitcnt vmcnt(0)
	v_add_f64 v[6:7], v[6:7], v[2:3]
	scratch_load_b64 v[2:3], off, off offset:180 ; 8-byte Folded Reload
	v_add_f64 v[6:7], v[10:11], v[6:7]
	v_fma_f64 v[10:11], v[18:19], s[4:5], v[222:223]
	v_fma_f64 v[18:19], v[18:19], s[16:17], v[149:150]
	s_delay_alu instid0(VALU_DEP_2) | instskip(SKIP_1) | instid1(VALU_DEP_1)
	v_add_f64 v[0:1], v[10:11], v[0:1]
	v_fma_f64 v[10:11], v[16:17], s[4:5], -v[224:225]
	v_add_f64 v[6:7], v[10:11], v[6:7]
	v_fma_f64 v[10:11], v[22:23], s[6:7], v[226:227]
	s_delay_alu instid0(VALU_DEP_1) | instskip(SKIP_1) | instid1(VALU_DEP_1)
	v_add_f64 v[0:1], v[10:11], v[0:1]
	v_fma_f64 v[10:11], v[20:21], s[6:7], -v[228:229]
	v_add_f64 v[6:7], v[10:11], v[6:7]
	v_fma_f64 v[10:11], v[32:33], s[14:15], v[230:231]
	s_delay_alu instid0(VALU_DEP_1) | instskip(SKIP_1) | instid1(VALU_DEP_1)
	;; [unrolled: 5-line block ×3, first 2 shown]
	v_add_f64 v[0:1], v[10:11], v[0:1]
	v_fma_f64 v[10:11], v[28:29], s[18:19], -v[236:237]
	v_add_f64 v[6:7], v[10:11], v[6:7]
	v_fma_f64 v[10:11], v[92:93], s[22:23], v[238:239]
	s_delay_alu instid0(VALU_DEP_2) | instskip(NEXT) | instid1(VALU_DEP_2)
	v_add_f64 v[64:65], v[14:15], v[6:7]
	v_add_f64 v[66:67], v[10:11], v[0:1]
	scratch_load_b64 v[0:1], off, off offset:172 ; 8-byte Folded Reload
	v_fma_f64 v[14:15], v[34:35], s[18:19], -v[163:164]
	s_waitcnt vmcnt(1)
	v_fma_f64 v[6:7], v[68:69], s[20:21], -v[2:3]
	scratch_load_b64 v[2:3], off, off offset:188 ; 8-byte Folded Reload
	s_waitcnt vmcnt(0)
	v_fma_f64 v[10:11], v[76:77], s[18:19], v[2:3]
	scratch_load_b64 v[2:3], off, off offset:68 ; 8-byte Folded Reload
	v_fma_f64 v[0:1], v[70:71], s[20:21], v[0:1]
	s_waitcnt vmcnt(0)
	s_delay_alu instid0(VALU_DEP_1) | instskip(SKIP_4) | instid1(VALU_DEP_3)
	v_add_f64 v[0:1], v[0:1], v[2:3]
	scratch_load_b64 v[2:3], off, off offset:60 ; 8-byte Folded Reload
	v_add_f64 v[0:1], v[10:11], v[0:1]
	v_fma_f64 v[10:11], v[16:17], s[16:17], -v[147:148]
	v_fma_f64 v[16:17], v[20:21], s[14:15], -v[111:112]
	v_add_f64 v[0:1], v[18:19], v[0:1]
	s_waitcnt vmcnt(0)
	v_add_f64 v[6:7], v[6:7], v[2:3]
	scratch_load_b32 v2, off, off offset:4  ; 4-byte Folded Reload
	v_add_f64 v[6:7], v[14:15], v[6:7]
	v_fma_f64 v[14:15], v[22:23], s[14:15], v[137:138]
	s_delay_alu instid0(VALU_DEP_2) | instskip(SKIP_1) | instid1(VALU_DEP_3)
	v_add_f64 v[6:7], v[10:11], v[6:7]
	v_fma_f64 v[10:11], v[32:33], s[10:11], v[109:110]
	v_add_f64 v[0:1], v[14:15], v[0:1]
	s_delay_alu instid0(VALU_DEP_3) | instskip(NEXT) | instid1(VALU_DEP_2)
	v_add_f64 v[6:7], v[16:17], v[6:7]
	v_add_f64 v[0:1], v[10:11], v[0:1]
	s_delay_alu instid0(VALU_DEP_2) | instskip(NEXT) | instid1(VALU_DEP_2)
	v_add_f64 v[6:7], v[12:13], v[6:7]
	v_add_f64 v[0:1], v[8:9], v[0:1]
	v_fma_f64 v[8:9], v[56:57], s[4:5], -v[212:213]
	s_delay_alu instid0(VALU_DEP_3) | instskip(NEXT) | instid1(VALU_DEP_1)
	v_add_f64 v[4:5], v[4:5], v[6:7]
	v_add_f64 v[16:17], v[8:9], v[4:5]
	s_waitcnt vmcnt(0)
	v_or_b32_e32 v108, 0x70, v2
	v_fma_f64 v[2:3], v[92:93], s[4:5], v[26:27]
	s_delay_alu instid0(VALU_DEP_1) | instskip(SKIP_3) | instid1(VALU_DEP_1)
	v_add_f64 v[18:19], v[2:3], v[0:1]
	scratch_load_b32 v1, off, off           ; 4-byte Folded Reload
	v_and_b32_e32 v0, 0xffff, v255
	s_waitcnt vmcnt(0)
	v_lshl_add_u32 v0, v0, 4, v1
	scratch_load_b128 v[1:4], off, off offset:12 ; 16-byte Folded Reload
	s_waitcnt vmcnt(0)
	ds_store_b128 v0, v[1:4]
	ds_store_b128 v0, v[117:120] offset:16
	ds_store_b128 v0, v[121:124] offset:32
	;; [unrolled: 1-line block ×7, first 2 shown]
	scratch_load_b128 v[1:4], off, off offset:44 ; 16-byte Folded Reload
	s_waitcnt vmcnt(0)
	ds_store_b128 v0, v[1:4] offset:128
	scratch_load_b128 v[1:4], off, off offset:28 ; 16-byte Folded Reload
	s_waitcnt vmcnt(0)
	ds_store_b128 v0, v[1:4] offset:144
	;; [unrolled: 3-line block ×3, first 2 shown]
	ds_store_b128 v0, v[113:116] offset:176
	ds_store_b128 v0, v[82:85] offset:192
	ds_store_b128 v0, v[86:89] offset:208
	ds_store_b128 v0, v[94:97] offset:224
	ds_store_b128 v0, v[64:67] offset:240
	ds_store_b128 v0, v[16:19] offset:256
.LBB0_13:
	s_or_b32 exec_lo, exec_lo, s33
	s_waitcnt lgkmcnt(0)
	s_waitcnt_vscnt null, 0x0
	s_barrier
	buffer_gl0_inv
	ds_load_b128 v[0:3], v209 offset:272
	ds_load_b128 v[4:7], v209 offset:544
	ds_load_b128 v[8:11], v209 offset:1632
	ds_load_b128 v[12:15], v209 offset:1360
	ds_load_b128 v[16:19], v209 offset:816
	ds_load_b128 v[20:23], v209 offset:1088
	s_mov_b32 s4, 0x37e14327
	s_mov_b32 s5, 0x3fe948f6
	;; [unrolled: 1-line block ×10, first 2 shown]
	s_waitcnt lgkmcnt(5)
	v_mul_f64 v[24:25], v[42:43], v[2:3]
	v_mul_f64 v[26:27], v[42:43], v[0:1]
	s_waitcnt lgkmcnt(4)
	v_mul_f64 v[28:29], v[171:172], v[6:7]
	v_mul_f64 v[30:31], v[171:172], v[4:5]
	;; [unrolled: 3-line block ×6, first 2 shown]
	v_fma_f64 v[0:1], v[40:41], v[0:1], v[24:25]
	v_fma_f64 v[2:3], v[40:41], v[2:3], -v[26:27]
	v_fma_f64 v[4:5], v[169:170], v[4:5], v[28:29]
	v_fma_f64 v[6:7], v[169:170], v[6:7], -v[30:31]
	;; [unrolled: 2-line block ×6, first 2 shown]
	v_add_f64 v[24:25], v[0:1], v[8:9]
	v_add_f64 v[26:27], v[2:3], v[10:11]
	;; [unrolled: 1-line block ×4, first 2 shown]
	v_add_f64 v[4:5], v[4:5], -v[12:13]
	v_add_f64 v[6:7], v[6:7], -v[14:15]
	v_add_f64 v[32:33], v[16:17], v[20:21]
	v_add_f64 v[34:35], v[18:19], v[22:23]
	v_add_f64 v[12:13], v[20:21], -v[16:17]
	v_add_f64 v[14:15], v[22:23], -v[18:19]
	;; [unrolled: 1-line block ×4, first 2 shown]
	v_add_f64 v[0:1], v[28:29], v[24:25]
	v_add_f64 v[2:3], v[30:31], v[26:27]
	v_add_f64 v[16:17], v[24:25], -v[32:33]
	v_add_f64 v[18:19], v[26:27], -v[34:35]
	;; [unrolled: 1-line block ×10, first 2 shown]
	v_add_f64 v[4:5], v[12:13], v[4:5]
	v_add_f64 v[6:7], v[14:15], v[6:7]
	v_add_f64 v[12:13], v[8:9], -v[12:13]
	v_add_f64 v[14:15], v[10:11], -v[14:15]
	v_add_f64 v[32:33], v[32:33], v[0:1]
	v_add_f64 v[34:35], v[34:35], v[2:3]
	ds_load_b128 v[0:3], v209
	v_mul_f64 v[16:17], v[16:17], s[4:5]
	v_mul_f64 v[18:19], v[18:19], s[4:5]
	s_mov_b32 s4, 0x429ad128
	v_mul_f64 v[28:29], v[20:21], s[6:7]
	v_mul_f64 v[30:31], v[22:23], s[6:7]
	;; [unrolled: 1-line block ×4, first 2 shown]
	s_mov_b32 s5, 0xbfebfeb5
	s_mov_b32 s10, 0xaaaaaaaa
	v_mul_f64 v[44:45], v[40:41], s[4:5]
	v_mul_f64 v[46:47], v[42:43], s[4:5]
	s_mov_b32 s11, 0xbff2aaaa
	v_add_f64 v[4:5], v[4:5], v[8:9]
	v_add_f64 v[6:7], v[6:7], v[10:11]
	s_waitcnt lgkmcnt(0)
	v_add_f64 v[0:1], v[0:1], v[32:33]
	v_add_f64 v[2:3], v[2:3], v[34:35]
	v_fma_f64 v[8:9], v[20:21], s[6:7], v[16:17]
	v_fma_f64 v[10:11], v[22:23], s[6:7], v[18:19]
	v_fma_f64 v[20:21], v[24:25], s[14:15], -v[28:29]
	v_fma_f64 v[22:23], v[26:27], s[14:15], -v[30:31]
	s_mov_b32 s15, 0xbfe77f67
	v_fma_f64 v[28:29], v[12:13], s[16:17], v[36:37]
	v_fma_f64 v[30:31], v[14:15], s[16:17], v[38:39]
	s_mov_b32 s17, 0x3fd5d0dc
	v_fma_f64 v[36:37], v[40:41], s[4:5], -v[36:37]
	v_fma_f64 v[38:39], v[42:43], s[4:5], -v[38:39]
	;; [unrolled: 1-line block ×6, first 2 shown]
	s_mov_b32 s4, 0x37c3f68c
	s_mov_b32 s5, 0xbfdc38aa
	v_fma_f64 v[32:33], v[32:33], s[10:11], v[0:1]
	v_fma_f64 v[34:35], v[34:35], s[10:11], v[2:3]
	;; [unrolled: 1-line block ×8, first 2 shown]
	v_add_f64 v[40:41], v[8:9], v[32:33]
	v_add_f64 v[42:43], v[10:11], v[34:35]
	;; [unrolled: 1-line block ×7, first 2 shown]
	v_add_f64 v[6:7], v[42:43], -v[26:27]
	v_add_f64 v[8:9], v[38:39], v[44:45]
	v_add_f64 v[10:11], v[46:47], -v[36:37]
	v_add_f64 v[12:13], v[16:17], -v[30:31]
	v_add_f64 v[14:15], v[28:29], v[18:19]
	v_add_f64 v[16:17], v[30:31], v[16:17]
	v_add_f64 v[18:19], v[18:19], -v[28:29]
	v_add_f64 v[20:21], v[44:45], -v[38:39]
	v_add_f64 v[22:23], v[36:37], v[46:47]
	v_add_f64 v[24:25], v[40:41], -v[24:25]
	v_add_f64 v[26:27], v[26:27], v[42:43]
	ds_store_b128 v104, v[0:3]
	ds_store_b128 v104, v[4:7] offset:272
	ds_store_b128 v104, v[8:11] offset:544
	;; [unrolled: 1-line block ×6, first 2 shown]
	s_waitcnt lgkmcnt(0)
	s_barrier
	buffer_gl0_inv
	s_and_b32 exec_lo, exec_lo, vcc_lo
	s_cbranch_execz .LBB0_15
; %bb.14:
	global_load_b128 v[0:3], v220, s[8:9]
	ds_load_b128 v[4:7], v104
	ds_load_b128 v[8:11], v104 offset:112
	scratch_load_b32 v16, off, off offset:4 ; 4-byte Folded Reload
	s_mov_b32 s4, 0x1135c811
	s_mov_b32 s5, 0x3f8135c8
	s_mul_hi_u32 s6, s0, 0x70
	s_waitcnt vmcnt(1) lgkmcnt(1)
	v_mul_f64 v[12:13], v[6:7], v[2:3]
	v_mul_f64 v[2:3], v[4:5], v[2:3]
	s_delay_alu instid0(VALU_DEP_2) | instskip(NEXT) | instid1(VALU_DEP_2)
	v_fma_f64 v[4:5], v[4:5], v[0:1], v[12:13]
	v_fma_f64 v[0:1], v[0:1], v[6:7], -v[2:3]
	v_mad_u64_u32 v[6:7], null, s2, v254, 0
	s_waitcnt vmcnt(0)
	v_mad_u64_u32 v[12:13], null, s0, v16, 0
	s_mul_i32 s2, s1, 0x70
	s_delay_alu instid0(SALU_CYCLE_1) | instskip(NEXT) | instid1(VALU_DEP_4)
	s_add_i32 s2, s6, s2
	v_mul_f64 v[2:3], v[4:5], s[4:5]
	s_delay_alu instid0(VALU_DEP_4) | instskip(NEXT) | instid1(VALU_DEP_3)
	v_mul_f64 v[4:5], v[0:1], s[4:5]
	v_dual_mov_b32 v0, v7 :: v_dual_mov_b32 v1, v13
	s_delay_alu instid0(VALU_DEP_1) | instskip(SKIP_1) | instid1(VALU_DEP_1)
	v_mad_u64_u32 v[13:14], null, s3, v254, v[0:1]
	s_mul_i32 s3, s0, 0x70
	v_mov_b32_e32 v7, v13
	v_mad_u64_u32 v[14:15], null, s1, v16, v[1:2]
	s_delay_alu instid0(VALU_DEP_2) | instskip(NEXT) | instid1(VALU_DEP_1)
	v_lshlrev_b64 v[0:1], 4, v[6:7]
	v_add_co_u32 v0, vcc_lo, s12, v0
	s_delay_alu instid0(VALU_DEP_3) | instskip(NEXT) | instid1(VALU_DEP_3)
	v_mov_b32_e32 v13, v14
	v_add_co_ci_u32_e32 v1, vcc_lo, s13, v1, vcc_lo
	s_delay_alu instid0(VALU_DEP_2) | instskip(NEXT) | instid1(VALU_DEP_1)
	v_lshlrev_b64 v[6:7], 4, v[12:13]
	v_add_co_u32 v6, vcc_lo, v0, v6
	s_delay_alu instid0(VALU_DEP_2) | instskip(NEXT) | instid1(VALU_DEP_2)
	v_add_co_ci_u32_e32 v7, vcc_lo, v1, v7, vcc_lo
	v_add_co_u32 v14, vcc_lo, v6, s3
	global_store_b128 v[6:7], v[2:5], off
	global_load_b128 v[2:5], v220, s[8:9] offset:112
	v_add_co_ci_u32_e32 v15, vcc_lo, s2, v7, vcc_lo
	s_waitcnt vmcnt(0) lgkmcnt(0)
	v_mul_f64 v[12:13], v[10:11], v[4:5]
	v_mul_f64 v[4:5], v[8:9], v[4:5]
	s_delay_alu instid0(VALU_DEP_2) | instskip(NEXT) | instid1(VALU_DEP_2)
	v_fma_f64 v[8:9], v[8:9], v[2:3], v[12:13]
	v_fma_f64 v[4:5], v[2:3], v[10:11], -v[4:5]
	s_delay_alu instid0(VALU_DEP_2) | instskip(NEXT) | instid1(VALU_DEP_2)
	v_mul_f64 v[2:3], v[8:9], s[4:5]
	v_mul_f64 v[4:5], v[4:5], s[4:5]
	global_store_b128 v[14:15], v[2:5], off
	global_load_b128 v[2:5], v220, s[8:9] offset:224
	ds_load_b128 v[6:9], v104 offset:224
	ds_load_b128 v[10:13], v104 offset:336
	s_waitcnt vmcnt(0) lgkmcnt(1)
	v_mul_f64 v[16:17], v[8:9], v[4:5]
	v_mul_f64 v[4:5], v[6:7], v[4:5]
	s_delay_alu instid0(VALU_DEP_2) | instskip(NEXT) | instid1(VALU_DEP_2)
	v_fma_f64 v[6:7], v[6:7], v[2:3], v[16:17]
	v_fma_f64 v[4:5], v[2:3], v[8:9], -v[4:5]
	s_delay_alu instid0(VALU_DEP_2) | instskip(NEXT) | instid1(VALU_DEP_2)
	v_mul_f64 v[2:3], v[6:7], s[4:5]
	v_mul_f64 v[4:5], v[4:5], s[4:5]
	v_add_co_u32 v6, vcc_lo, v14, s3
	v_add_co_ci_u32_e32 v7, vcc_lo, s2, v15, vcc_lo
	s_delay_alu instid0(VALU_DEP_2) | instskip(NEXT) | instid1(VALU_DEP_2)
	v_add_co_u32 v14, vcc_lo, v6, s3
	v_add_co_ci_u32_e32 v15, vcc_lo, s2, v7, vcc_lo
	global_store_b128 v[6:7], v[2:5], off
	global_load_b128 v[2:5], v220, s[8:9] offset:336
	s_waitcnt vmcnt(0) lgkmcnt(0)
	v_mul_f64 v[8:9], v[12:13], v[4:5]
	v_mul_f64 v[4:5], v[10:11], v[4:5]
	s_delay_alu instid0(VALU_DEP_2) | instskip(NEXT) | instid1(VALU_DEP_2)
	v_fma_f64 v[8:9], v[10:11], v[2:3], v[8:9]
	v_fma_f64 v[4:5], v[2:3], v[12:13], -v[4:5]
	s_delay_alu instid0(VALU_DEP_2) | instskip(NEXT) | instid1(VALU_DEP_2)
	v_mul_f64 v[2:3], v[8:9], s[4:5]
	v_mul_f64 v[4:5], v[4:5], s[4:5]
	global_store_b128 v[14:15], v[2:5], off
	global_load_b128 v[2:5], v220, s[8:9] offset:448
	ds_load_b128 v[6:9], v104 offset:448
	ds_load_b128 v[10:13], v104 offset:560
	s_waitcnt vmcnt(0) lgkmcnt(1)
	v_mul_f64 v[16:17], v[8:9], v[4:5]
	v_mul_f64 v[4:5], v[6:7], v[4:5]
	s_delay_alu instid0(VALU_DEP_2) | instskip(NEXT) | instid1(VALU_DEP_2)
	v_fma_f64 v[6:7], v[6:7], v[2:3], v[16:17]
	v_fma_f64 v[4:5], v[2:3], v[8:9], -v[4:5]
	s_delay_alu instid0(VALU_DEP_2) | instskip(NEXT) | instid1(VALU_DEP_2)
	v_mul_f64 v[2:3], v[6:7], s[4:5]
	v_mul_f64 v[4:5], v[4:5], s[4:5]
	v_add_co_u32 v6, vcc_lo, v14, s3
	v_add_co_ci_u32_e32 v7, vcc_lo, s2, v15, vcc_lo
	s_delay_alu instid0(VALU_DEP_2) | instskip(NEXT) | instid1(VALU_DEP_2)
	v_add_co_u32 v14, vcc_lo, v6, s3
	v_add_co_ci_u32_e32 v15, vcc_lo, s2, v7, vcc_lo
	global_store_b128 v[6:7], v[2:5], off
	global_load_b128 v[2:5], v220, s[8:9] offset:560
	;; [unrolled: 29-line block ×3, first 2 shown]
	s_waitcnt vmcnt(0) lgkmcnt(0)
	v_mul_f64 v[8:9], v[12:13], v[4:5]
	v_mul_f64 v[4:5], v[10:11], v[4:5]
	s_delay_alu instid0(VALU_DEP_2) | instskip(NEXT) | instid1(VALU_DEP_2)
	v_fma_f64 v[8:9], v[10:11], v[2:3], v[8:9]
	v_fma_f64 v[4:5], v[2:3], v[12:13], -v[4:5]
	s_delay_alu instid0(VALU_DEP_2) | instskip(NEXT) | instid1(VALU_DEP_2)
	v_mul_f64 v[2:3], v[8:9], s[4:5]
	v_mul_f64 v[4:5], v[4:5], s[4:5]
	global_store_b128 v[14:15], v[2:5], off
	global_load_b128 v[2:5], v220, s[8:9] offset:896
	ds_load_b128 v[6:9], v104 offset:896
	ds_load_b128 v[10:13], v104 offset:1008
	s_waitcnt vmcnt(0) lgkmcnt(1)
	v_mul_f64 v[16:17], v[8:9], v[4:5]
	v_mul_f64 v[4:5], v[6:7], v[4:5]
	s_delay_alu instid0(VALU_DEP_2) | instskip(NEXT) | instid1(VALU_DEP_2)
	v_fma_f64 v[6:7], v[6:7], v[2:3], v[16:17]
	v_fma_f64 v[4:5], v[2:3], v[8:9], -v[4:5]
	v_mad_u64_u32 v[8:9], null, s0, v253, 0
	s_delay_alu instid0(VALU_DEP_3) | instskip(NEXT) | instid1(VALU_DEP_2)
	v_mul_f64 v[2:3], v[6:7], s[4:5]
	v_mov_b32_e32 v6, v9
	s_delay_alu instid0(VALU_DEP_4) | instskip(NEXT) | instid1(VALU_DEP_2)
	v_mul_f64 v[4:5], v[4:5], s[4:5]
	v_mad_u64_u32 v[16:17], null, s1, v253, v[6:7]
	s_delay_alu instid0(VALU_DEP_1) | instskip(SKIP_1) | instid1(VALU_DEP_2)
	v_mov_b32_e32 v9, v16
	v_mad_u64_u32 v[16:17], null, 0xe0, s0, v[14:15]
	v_lshlrev_b64 v[6:7], 4, v[8:9]
	s_delay_alu instid0(VALU_DEP_1) | instskip(NEXT) | instid1(VALU_DEP_2)
	v_add_co_u32 v6, vcc_lo, v0, v6
	v_add_co_ci_u32_e32 v7, vcc_lo, v1, v7, vcc_lo
	global_store_b128 v[6:7], v[2:5], off
	global_load_b128 v[2:5], v220, s[8:9] offset:1008
	s_waitcnt vmcnt(0) lgkmcnt(0)
	v_mul_f64 v[6:7], v[12:13], v[4:5]
	v_mul_f64 v[4:5], v[10:11], v[4:5]
	s_delay_alu instid0(VALU_DEP_2) | instskip(NEXT) | instid1(VALU_DEP_2)
	v_fma_f64 v[6:7], v[10:11], v[2:3], v[6:7]
	v_fma_f64 v[4:5], v[2:3], v[12:13], -v[4:5]
	s_delay_alu instid0(VALU_DEP_2) | instskip(SKIP_1) | instid1(VALU_DEP_3)
	v_mul_f64 v[2:3], v[6:7], s[4:5]
	v_mov_b32_e32 v6, v17
	v_mul_f64 v[4:5], v[4:5], s[4:5]
	s_delay_alu instid0(VALU_DEP_2) | instskip(NEXT) | instid1(VALU_DEP_1)
	v_mad_u64_u32 v[7:8], null, 0xe0, s1, v[6:7]
	v_mov_b32_e32 v17, v7
	global_store_b128 v[16:17], v[2:5], off
	global_load_b128 v[2:5], v220, s[8:9] offset:1120
	ds_load_b128 v[6:9], v104 offset:1120
	ds_load_b128 v[10:13], v104 offset:1232
	s_waitcnt vmcnt(0) lgkmcnt(1)
	v_mul_f64 v[14:15], v[8:9], v[4:5]
	v_mul_f64 v[4:5], v[6:7], v[4:5]
	s_delay_alu instid0(VALU_DEP_2) | instskip(NEXT) | instid1(VALU_DEP_2)
	v_fma_f64 v[6:7], v[6:7], v[2:3], v[14:15]
	v_fma_f64 v[4:5], v[2:3], v[8:9], -v[4:5]
	s_delay_alu instid0(VALU_DEP_2) | instskip(NEXT) | instid1(VALU_DEP_2)
	v_mul_f64 v[2:3], v[6:7], s[4:5]
	v_mul_f64 v[4:5], v[4:5], s[4:5]
	v_add_co_u32 v6, vcc_lo, v16, s3
	v_add_co_ci_u32_e32 v7, vcc_lo, s2, v17, vcc_lo
	s_delay_alu instid0(VALU_DEP_2) | instskip(NEXT) | instid1(VALU_DEP_2)
	v_add_co_u32 v14, vcc_lo, v6, s3
	v_add_co_ci_u32_e32 v15, vcc_lo, s2, v7, vcc_lo
	global_store_b128 v[6:7], v[2:5], off
	global_load_b128 v[2:5], v220, s[8:9] offset:1232
	s_waitcnt vmcnt(0) lgkmcnt(0)
	v_mul_f64 v[8:9], v[12:13], v[4:5]
	v_mul_f64 v[4:5], v[10:11], v[4:5]
	s_delay_alu instid0(VALU_DEP_2) | instskip(NEXT) | instid1(VALU_DEP_2)
	v_fma_f64 v[8:9], v[10:11], v[2:3], v[8:9]
	v_fma_f64 v[4:5], v[2:3], v[12:13], -v[4:5]
	s_delay_alu instid0(VALU_DEP_2) | instskip(NEXT) | instid1(VALU_DEP_2)
	v_mul_f64 v[2:3], v[8:9], s[4:5]
	v_mul_f64 v[4:5], v[4:5], s[4:5]
	global_store_b128 v[14:15], v[2:5], off
	global_load_b128 v[2:5], v220, s[8:9] offset:1344
	ds_load_b128 v[6:9], v104 offset:1344
	ds_load_b128 v[10:13], v104 offset:1456
	s_waitcnt vmcnt(0) lgkmcnt(1)
	v_mul_f64 v[16:17], v[8:9], v[4:5]
	v_mul_f64 v[4:5], v[6:7], v[4:5]
	s_delay_alu instid0(VALU_DEP_2) | instskip(NEXT) | instid1(VALU_DEP_2)
	v_fma_f64 v[6:7], v[6:7], v[2:3], v[16:17]
	v_fma_f64 v[4:5], v[2:3], v[8:9], -v[4:5]
	s_delay_alu instid0(VALU_DEP_2) | instskip(NEXT) | instid1(VALU_DEP_2)
	v_mul_f64 v[2:3], v[6:7], s[4:5]
	v_mul_f64 v[4:5], v[4:5], s[4:5]
	v_add_co_u32 v6, vcc_lo, v14, s3
	v_add_co_ci_u32_e32 v7, vcc_lo, s2, v15, vcc_lo
	s_delay_alu instid0(VALU_DEP_2) | instskip(NEXT) | instid1(VALU_DEP_2)
	v_add_co_u32 v14, vcc_lo, v6, s3
	v_add_co_ci_u32_e32 v15, vcc_lo, s2, v7, vcc_lo
	global_store_b128 v[6:7], v[2:5], off
	global_load_b128 v[2:5], v220, s[8:9] offset:1456
	s_waitcnt vmcnt(0) lgkmcnt(0)
	v_mul_f64 v[8:9], v[12:13], v[4:5]
	v_mul_f64 v[4:5], v[10:11], v[4:5]
	s_delay_alu instid0(VALU_DEP_2) | instskip(NEXT) | instid1(VALU_DEP_2)
	v_fma_f64 v[8:9], v[10:11], v[2:3], v[8:9]
	v_fma_f64 v[4:5], v[2:3], v[12:13], -v[4:5]
	s_delay_alu instid0(VALU_DEP_2) | instskip(NEXT) | instid1(VALU_DEP_2)
	v_mul_f64 v[2:3], v[8:9], s[4:5]
	v_mul_f64 v[4:5], v[4:5], s[4:5]
	global_store_b128 v[14:15], v[2:5], off
	global_load_b128 v[2:5], v220, s[8:9] offset:1568
	ds_load_b128 v[6:9], v104 offset:1568
	ds_load_b128 v[10:13], v104 offset:1680
	s_waitcnt vmcnt(0) lgkmcnt(1)
	v_mul_f64 v[16:17], v[8:9], v[4:5]
	v_mul_f64 v[4:5], v[6:7], v[4:5]
	s_delay_alu instid0(VALU_DEP_2) | instskip(NEXT) | instid1(VALU_DEP_2)
	v_fma_f64 v[6:7], v[6:7], v[2:3], v[16:17]
	v_fma_f64 v[4:5], v[2:3], v[8:9], -v[4:5]
	s_delay_alu instid0(VALU_DEP_2) | instskip(NEXT) | instid1(VALU_DEP_2)
	v_mul_f64 v[2:3], v[6:7], s[4:5]
	v_mul_f64 v[4:5], v[4:5], s[4:5]
	v_add_co_u32 v6, vcc_lo, v14, s3
	v_add_co_ci_u32_e32 v7, vcc_lo, s2, v15, vcc_lo
	global_store_b128 v[6:7], v[2:5], off
	global_load_b128 v[2:5], v220, s[8:9] offset:1680
	v_add_co_u32 v6, vcc_lo, v6, s3
	v_add_co_ci_u32_e32 v7, vcc_lo, s2, v7, vcc_lo
	s_waitcnt vmcnt(0) lgkmcnt(0)
	v_mul_f64 v[8:9], v[12:13], v[4:5]
	v_mul_f64 v[4:5], v[10:11], v[4:5]
	s_delay_alu instid0(VALU_DEP_2) | instskip(NEXT) | instid1(VALU_DEP_2)
	v_fma_f64 v[8:9], v[10:11], v[2:3], v[8:9]
	v_fma_f64 v[4:5], v[2:3], v[12:13], -v[4:5]
	s_delay_alu instid0(VALU_DEP_2) | instskip(NEXT) | instid1(VALU_DEP_2)
	v_mul_f64 v[2:3], v[8:9], s[4:5]
	v_mul_f64 v[4:5], v[4:5], s[4:5]
	global_store_b128 v[6:7], v[2:5], off
	global_load_b128 v[2:5], v220, s[8:9] offset:1792
	ds_load_b128 v[6:9], v104 offset:1792
	s_waitcnt vmcnt(0) lgkmcnt(0)
	v_mul_f64 v[10:11], v[8:9], v[4:5]
	v_mul_f64 v[4:5], v[6:7], v[4:5]
	s_delay_alu instid0(VALU_DEP_2) | instskip(NEXT) | instid1(VALU_DEP_2)
	v_fma_f64 v[6:7], v[6:7], v[2:3], v[10:11]
	v_fma_f64 v[4:5], v[2:3], v[8:9], -v[4:5]
	v_mad_u64_u32 v[8:9], null, s0, v108, 0
	s_delay_alu instid0(VALU_DEP_3) | instskip(NEXT) | instid1(VALU_DEP_2)
	v_mul_f64 v[2:3], v[6:7], s[4:5]
	v_mov_b32_e32 v6, v9
	s_delay_alu instid0(VALU_DEP_4) | instskip(NEXT) | instid1(VALU_DEP_2)
	v_mul_f64 v[4:5], v[4:5], s[4:5]
	v_mad_u64_u32 v[9:10], null, s1, v108, v[6:7]
	s_delay_alu instid0(VALU_DEP_1) | instskip(NEXT) | instid1(VALU_DEP_1)
	v_lshlrev_b64 v[6:7], 4, v[8:9]
	v_add_co_u32 v0, vcc_lo, v0, v6
	s_delay_alu instid0(VALU_DEP_2)
	v_add_co_ci_u32_e32 v1, vcc_lo, v1, v7, vcc_lo
	global_store_b128 v[0:1], v[2:5], off
.LBB0_15:
	s_nop 0
	s_sendmsg sendmsg(MSG_DEALLOC_VGPRS)
	s_endpgm
	.section	.rodata,"a",@progbits
	.p2align	6, 0x0
	.amdhsa_kernel bluestein_single_back_len119_dim1_dp_op_CI_CI
		.amdhsa_group_segment_fixed_size 28560
		.amdhsa_private_segment_fixed_size 408
		.amdhsa_kernarg_size 104
		.amdhsa_user_sgpr_count 15
		.amdhsa_user_sgpr_dispatch_ptr 0
		.amdhsa_user_sgpr_queue_ptr 0
		.amdhsa_user_sgpr_kernarg_segment_ptr 1
		.amdhsa_user_sgpr_dispatch_id 0
		.amdhsa_user_sgpr_private_segment_size 0
		.amdhsa_wavefront_size32 1
		.amdhsa_uses_dynamic_stack 0
		.amdhsa_enable_private_segment 1
		.amdhsa_system_sgpr_workgroup_id_x 1
		.amdhsa_system_sgpr_workgroup_id_y 0
		.amdhsa_system_sgpr_workgroup_id_z 0
		.amdhsa_system_sgpr_workgroup_info 0
		.amdhsa_system_vgpr_workitem_id 0
		.amdhsa_next_free_vgpr 256
		.amdhsa_next_free_sgpr 54
		.amdhsa_reserve_vcc 1
		.amdhsa_float_round_mode_32 0
		.amdhsa_float_round_mode_16_64 0
		.amdhsa_float_denorm_mode_32 3
		.amdhsa_float_denorm_mode_16_64 3
		.amdhsa_dx10_clamp 1
		.amdhsa_ieee_mode 1
		.amdhsa_fp16_overflow 0
		.amdhsa_workgroup_processor_mode 1
		.amdhsa_memory_ordered 1
		.amdhsa_forward_progress 0
		.amdhsa_shared_vgpr_count 0
		.amdhsa_exception_fp_ieee_invalid_op 0
		.amdhsa_exception_fp_denorm_src 0
		.amdhsa_exception_fp_ieee_div_zero 0
		.amdhsa_exception_fp_ieee_overflow 0
		.amdhsa_exception_fp_ieee_underflow 0
		.amdhsa_exception_fp_ieee_inexact 0
		.amdhsa_exception_int_div_zero 0
	.end_amdhsa_kernel
	.text
.Lfunc_end0:
	.size	bluestein_single_back_len119_dim1_dp_op_CI_CI, .Lfunc_end0-bluestein_single_back_len119_dim1_dp_op_CI_CI
                                        ; -- End function
	.section	.AMDGPU.csdata,"",@progbits
; Kernel info:
; codeLenInByte = 23116
; NumSgprs: 56
; NumVgprs: 256
; ScratchSize: 408
; MemoryBound: 0
; FloatMode: 240
; IeeeMode: 1
; LDSByteSize: 28560 bytes/workgroup (compile time only)
; SGPRBlocks: 6
; VGPRBlocks: 31
; NumSGPRsForWavesPerEU: 56
; NumVGPRsForWavesPerEU: 256
; Occupancy: 5
; WaveLimiterHint : 1
; COMPUTE_PGM_RSRC2:SCRATCH_EN: 1
; COMPUTE_PGM_RSRC2:USER_SGPR: 15
; COMPUTE_PGM_RSRC2:TRAP_HANDLER: 0
; COMPUTE_PGM_RSRC2:TGID_X_EN: 1
; COMPUTE_PGM_RSRC2:TGID_Y_EN: 0
; COMPUTE_PGM_RSRC2:TGID_Z_EN: 0
; COMPUTE_PGM_RSRC2:TIDIG_COMP_CNT: 0
	.text
	.p2alignl 7, 3214868480
	.fill 96, 4, 3214868480
	.type	__hip_cuid_356773203f2bca63,@object ; @__hip_cuid_356773203f2bca63
	.section	.bss,"aw",@nobits
	.globl	__hip_cuid_356773203f2bca63
__hip_cuid_356773203f2bca63:
	.byte	0                               ; 0x0
	.size	__hip_cuid_356773203f2bca63, 1

	.ident	"AMD clang version 19.0.0git (https://github.com/RadeonOpenCompute/llvm-project roc-6.4.0 25133 c7fe45cf4b819c5991fe208aaa96edf142730f1d)"
	.section	".note.GNU-stack","",@progbits
	.addrsig
	.addrsig_sym __hip_cuid_356773203f2bca63
	.amdgpu_metadata
---
amdhsa.kernels:
  - .args:
      - .actual_access:  read_only
        .address_space:  global
        .offset:         0
        .size:           8
        .value_kind:     global_buffer
      - .actual_access:  read_only
        .address_space:  global
        .offset:         8
        .size:           8
        .value_kind:     global_buffer
      - .actual_access:  read_only
        .address_space:  global
        .offset:         16
        .size:           8
        .value_kind:     global_buffer
      - .actual_access:  read_only
        .address_space:  global
        .offset:         24
        .size:           8
        .value_kind:     global_buffer
      - .actual_access:  read_only
        .address_space:  global
        .offset:         32
        .size:           8
        .value_kind:     global_buffer
      - .offset:         40
        .size:           8
        .value_kind:     by_value
      - .address_space:  global
        .offset:         48
        .size:           8
        .value_kind:     global_buffer
      - .address_space:  global
        .offset:         56
        .size:           8
        .value_kind:     global_buffer
      - .address_space:  global
        .offset:         64
        .size:           8
        .value_kind:     global_buffer
      - .address_space:  global
        .offset:         72
        .size:           8
        .value_kind:     global_buffer
      - .offset:         80
        .size:           4
        .value_kind:     by_value
      - .address_space:  global
        .offset:         88
        .size:           8
        .value_kind:     global_buffer
      - .address_space:  global
        .offset:         96
        .size:           8
        .value_kind:     global_buffer
    .group_segment_fixed_size: 28560
    .kernarg_segment_align: 8
    .kernarg_segment_size: 104
    .language:       OpenCL C
    .language_version:
      - 2
      - 0
    .max_flat_workgroup_size: 255
    .name:           bluestein_single_back_len119_dim1_dp_op_CI_CI
    .private_segment_fixed_size: 408
    .sgpr_count:     56
    .sgpr_spill_count: 0
    .symbol:         bluestein_single_back_len119_dim1_dp_op_CI_CI.kd
    .uniform_work_group_size: 1
    .uses_dynamic_stack: false
    .vgpr_count:     256
    .vgpr_spill_count: 140
    .wavefront_size: 32
    .workgroup_processor_mode: 1
amdhsa.target:   amdgcn-amd-amdhsa--gfx1100
amdhsa.version:
  - 1
  - 2
...

	.end_amdgpu_metadata
